;; amdgpu-corpus repo=ROCm/rocFFT kind=compiled arch=gfx906 opt=O3
	.text
	.amdgcn_target "amdgcn-amd-amdhsa--gfx906"
	.amdhsa_code_object_version 6
	.protected	bluestein_single_back_len297_dim1_half_op_CI_CI ; -- Begin function bluestein_single_back_len297_dim1_half_op_CI_CI
	.globl	bluestein_single_back_len297_dim1_half_op_CI_CI
	.p2align	8
	.type	bluestein_single_back_len297_dim1_half_op_CI_CI,@function
bluestein_single_back_len297_dim1_half_op_CI_CI: ; @bluestein_single_back_len297_dim1_half_op_CI_CI
; %bb.0:
	v_mul_u32_u24_e32 v1, 0x7c2, v0
	s_load_dwordx4 s[8:11], s[4:5], 0x28
	v_lshrrev_b32_e32 v1, 16, v1
	v_mad_u64_u32 v[8:9], s[0:1], s6, 7, v[1:2]
	v_mov_b32_e32 v9, 0
	s_waitcnt lgkmcnt(0)
	v_cmp_gt_u64_e32 vcc, s[8:9], v[8:9]
	s_and_saveexec_b64 s[0:1], vcc
	s_cbranch_execz .LBB0_10
; %bb.1:
	s_load_dwordx4 s[0:3], s[4:5], 0x18
	s_load_dwordx4 s[12:15], s[4:5], 0x0
	v_mul_lo_u16_e32 v1, 33, v1
	v_sub_u16_e32 v38, v0, v1
	v_lshlrev_b32_e32 v41, 2, v38
	s_waitcnt lgkmcnt(0)
	s_load_dwordx4 s[16:19], s[0:1], 0x0
	global_load_dword v39, v41, s[12:13]
	s_movk_i32 s6, 0x3579
	s_mov_b32 s7, 0xbb84
                                        ; implicit-def: $vgpr62
                                        ; implicit-def: $vgpr61
                                        ; implicit-def: $vgpr63
	s_waitcnt lgkmcnt(0)
	v_mad_u64_u32 v[0:1], s[0:1], s18, v8, 0
	v_mad_u64_u32 v[2:3], s[0:1], s16, v38, 0
	;; [unrolled: 1-line block ×4, first 2 shown]
	v_mov_b32_e32 v1, v4
	v_lshlrev_b64 v[0:1], 2, v[0:1]
	v_mov_b32_e32 v6, s11
	v_mov_b32_e32 v3, v5
	v_add_co_u32_e32 v4, vcc, s10, v0
	v_addc_co_u32_e32 v5, vcc, v6, v1, vcc
	v_lshlrev_b64 v[0:1], 2, v[2:3]
	s_mul_i32 s0, s17, 0x84
	v_add_co_u32_e32 v0, vcc, v4, v0
	v_addc_co_u32_e32 v1, vcc, v5, v1, vcc
	s_mul_hi_u32 s1, s16, 0x84
	global_load_dword v2, v[0:1], off
	s_add_i32 s0, s1, s0
	s_mul_i32 s1, s16, 0x84
	v_mov_b32_e32 v3, s0
	v_add_co_u32_e32 v0, vcc, s1, v0
	v_addc_co_u32_e32 v1, vcc, v1, v3, vcc
	global_load_dword v3, v[0:1], off
	global_load_dword v37, v41, s[12:13] offset:132
	v_mov_b32_e32 v4, s0
	v_add_co_u32_e32 v0, vcc, s1, v0
	v_addc_co_u32_e32 v1, vcc, v1, v4, vcc
	global_load_dword v4, v[0:1], off
	global_load_dword v36, v41, s[12:13] offset:264
	;; [unrolled: 5-line block ×8, first 2 shown]
	s_mov_b32 s0, 0x24924925
	v_mul_hi_u32 v0, v8, s0
	s_load_dwordx4 s[8:11], s[2:3], 0x0
	s_movk_i32 s1, 0x3a21
	s_movk_i32 s2, 0x318f
	v_sub_u32_e32 v1, v8, v0
	v_lshrrev_b32_e32 v1, 1, v1
	v_add_u32_e32 v0, v1, v0
	v_lshrrev_b32_e32 v0, 2, v0
	v_mul_lo_u32 v0, v0, 7
	s_movk_i32 s0, 0x3aee
	s_movk_i32 s3, 0x3be1
	s_mov_b32 s16, 0xb924
	v_sub_u32_e32 v0, v8, v0
	v_mul_u32_u24_e32 v0, 0x129, v0
	v_lshlrev_b32_e32 v40, 2, v0
	v_add_u32_e32 v30, v41, v40
	s_waitcnt vmcnt(16)
	v_lshrrev_b32_e32 v0, 16, v2
	v_mul_f16_sdwa v1, v39, v2 dst_sel:DWORD dst_unused:UNUSED_PAD src0_sel:WORD_1 src1_sel:DWORD
	v_mul_f16_sdwa v12, v39, v0 dst_sel:DWORD dst_unused:UNUSED_PAD src0_sel:WORD_1 src1_sel:DWORD
	v_fma_f16 v2, v39, v2, v12
	v_fma_f16 v0, v39, v0, -v1
	v_pack_b32_f16 v0, v2, v0
	s_waitcnt vmcnt(15)
	v_lshrrev_b32_e32 v1, 16, v3
	s_waitcnt vmcnt(14)
	v_mul_f16_sdwa v2, v37, v1 dst_sel:DWORD dst_unused:UNUSED_PAD src0_sel:WORD_1 src1_sel:DWORD
	v_fma_f16 v2, v37, v3, v2
	v_mul_f16_sdwa v3, v37, v3 dst_sel:DWORD dst_unused:UNUSED_PAD src0_sel:WORD_1 src1_sel:DWORD
	v_fma_f16 v1, v37, v1, -v3
	v_pack_b32_f16 v1, v2, v1
	ds_write2_b32 v30, v0, v1 offset1:33
	s_waitcnt vmcnt(13)
	v_lshrrev_b32_e32 v0, 16, v4
	s_waitcnt vmcnt(12)
	v_mul_f16_sdwa v1, v36, v0 dst_sel:DWORD dst_unused:UNUSED_PAD src0_sel:WORD_1 src1_sel:DWORD
	v_mul_f16_sdwa v2, v36, v4 dst_sel:DWORD dst_unused:UNUSED_PAD src0_sel:WORD_1 src1_sel:DWORD
	v_fma_f16 v1, v36, v4, v1
	v_fma_f16 v0, v36, v0, -v2
	v_pack_b32_f16 v0, v1, v0
	s_waitcnt vmcnt(11)
	v_lshrrev_b32_e32 v1, 16, v5
	s_waitcnt vmcnt(10)
	v_mul_f16_sdwa v2, v35, v1 dst_sel:DWORD dst_unused:UNUSED_PAD src0_sel:WORD_1 src1_sel:DWORD
	v_mul_f16_sdwa v3, v35, v5 dst_sel:DWORD dst_unused:UNUSED_PAD src0_sel:WORD_1 src1_sel:DWORD
	v_fma_f16 v2, v35, v5, v2
	v_fma_f16 v1, v35, v1, -v3
	v_pack_b32_f16 v1, v2, v1
	ds_write2_b32 v30, v0, v1 offset0:66 offset1:99
	s_waitcnt vmcnt(9)
	v_lshrrev_b32_e32 v0, 16, v6
	s_waitcnt vmcnt(8)
	v_mul_f16_sdwa v1, v34, v0 dst_sel:DWORD dst_unused:UNUSED_PAD src0_sel:WORD_1 src1_sel:DWORD
	v_mul_f16_sdwa v2, v34, v6 dst_sel:DWORD dst_unused:UNUSED_PAD src0_sel:WORD_1 src1_sel:DWORD
	v_fma_f16 v1, v34, v6, v1
	v_fma_f16 v0, v34, v0, -v2
	v_pack_b32_f16 v0, v1, v0
	s_waitcnt vmcnt(7)
	v_lshrrev_b32_e32 v1, 16, v7
	s_waitcnt vmcnt(6)
	v_mul_f16_sdwa v2, v33, v1 dst_sel:DWORD dst_unused:UNUSED_PAD src0_sel:WORD_1 src1_sel:DWORD
	v_mul_f16_sdwa v3, v33, v7 dst_sel:DWORD dst_unused:UNUSED_PAD src0_sel:WORD_1 src1_sel:DWORD
	v_fma_f16 v2, v33, v7, v2
	v_fma_f16 v1, v33, v1, -v3
	v_pack_b32_f16 v1, v2, v1
	ds_write2_b32 v30, v0, v1 offset0:132 offset1:165
	;; [unrolled: 17-line block ×3, first 2 shown]
	s_waitcnt vmcnt(1)
	v_lshrrev_b32_e32 v0, 16, v11
	s_waitcnt vmcnt(0)
	v_mul_f16_sdwa v1, v29, v0 dst_sel:DWORD dst_unused:UNUSED_PAD src0_sel:WORD_1 src1_sel:DWORD
	v_mul_f16_sdwa v2, v29, v11 dst_sel:DWORD dst_unused:UNUSED_PAD src0_sel:WORD_1 src1_sel:DWORD
	v_fma_f16 v1, v29, v11, v1
	v_fma_f16 v0, v29, v0, -v2
	v_pack_b32_f16 v0, v1, v0
	ds_write_b32 v30, v0 offset:1056
	s_waitcnt lgkmcnt(0)
	s_barrier
	ds_read2_b32 v[0:1], v30 offset1:33
	ds_read2_b32 v[2:3], v30 offset0:66 offset1:99
	ds_read_b32 v9, v30 offset:1056
	ds_read2_b32 v[4:5], v30 offset0:198 offset1:231
	v_mul_lo_u16_e32 v6, 9, v38
	v_lshl_add_u32 v42, v6, 2, v40
	ds_read2_b32 v[6:7], v30 offset0:132 offset1:165
	s_waitcnt lgkmcnt(2)
	v_pk_add_f16 v10, v1, v9
	s_waitcnt lgkmcnt(1)
	v_pk_add_f16 v11, v2, v5
	v_pk_add_f16 v12, v3, v4
	v_pk_add_f16 v3, v3, v4 neg_lo:[0,1] neg_hi:[0,1]
	v_pk_add_f16 v4, v11, v10
	v_pk_add_f16 v2, v2, v5 neg_lo:[0,1] neg_hi:[0,1]
	;; [unrolled: 2-line block ×3, first 2 shown]
	v_lshrrev_b32_e32 v13, 16, v10
	v_lshrrev_b32_e32 v15, 16, v0
	s_waitcnt lgkmcnt(0)
	v_pk_add_f16 v5, v6, v5
	v_lshrrev_b32_e32 v18, 16, v1
	v_fma_f16 v14, v10, s1, v0
	v_pk_add_f16 v5, v7, v5
	v_pk_add_f16 v16, v6, v7 neg_lo:[0,1] neg_hi:[0,1]
	v_pk_add_f16 v6, v6, v7
	v_fma_f16 v7, v13, s1, v15
	v_lshrrev_b32_e32 v17, 16, v11
	v_mul_f16_e32 v9, 0x3924, v1
	v_mul_f16_e32 v19, 0x3924, v18
	v_lshrrev_b32_e32 v20, 16, v2
	v_fma_f16 v14, v11, s2, v14
	v_fma_f16 v7, v17, s2, v7
	;; [unrolled: 1-line block ×4, first 2 shown]
	v_pk_mul_f16 v21, v3, s0 op_sel_hi:[1,0]
	v_pk_mul_f16 v23, v12, 0.5 op_sel_hi:[1,0]
	v_add_f16_e32 v9, v21, v9
	v_add_f16_sdwa v19, v21, v19 dst_sel:DWORD dst_unused:UNUSED_PAD src0_sel:WORD_1 src1_sel:DWORD
	v_lshrrev_b32_e32 v22, 16, v16
	v_sub_f16_e32 v14, v14, v23
	v_sub_f16_sdwa v7, v7, v23 dst_sel:DWORD dst_unused:UNUSED_PAD src0_sel:DWORD src1_sel:WORD_1
	v_lshrrev_b32_e32 v24, 16, v6
	v_fma_f16 v9, v16, s6, v9
	v_fma_f16 v19, v22, s6, v19
	;; [unrolled: 1-line block ×4, first 2 shown]
	v_add_f16_e32 v14, v19, v14
	v_sub_f16_e32 v7, v7, v9
	v_pk_add_f16 v5, v5, v0
	v_pack_b32_f16 v25, v14, v7
	s_barrier
	ds_write2_b32 v42, v5, v25 offset1:1
	v_fma_f16 v5, v17, s1, v15
	v_fma_f16 v7, v9, 2.0, v7
	v_pk_mul_f16 v9, v16, s16 op_sel_hi:[1,0]
	v_pk_fma_f16 v15, v6, s1, v0 op_sel_hi:[1,0,1]
	v_pk_fma_f16 v9, v1, s3, v9 op_sel_hi:[1,0,1]
	;; [unrolled: 1-line block ×3, first 2 shown]
	v_pk_fma_f16 v3, v3, s0, v9 op_sel_hi:[1,0,1] neg_lo:[1,0,0] neg_hi:[1,0,0]
	v_fma_f16 v9, v11, s1, v0
	v_pk_add_f16 v0, v12, v0
	v_pk_fma_f16 v12, v12, 0.5, v15 op_sel_hi:[1,0,1] neg_lo:[1,0,0] neg_hi:[1,0,0]
	v_pk_fma_f16 v11, v11, s7, v12 op_sel_hi:[1,0,1]
	v_pk_fma_f16 v3, v2, s6, v3 op_sel_hi:[1,0,1]
	s_mov_b32 s1, 0xffff
	v_pk_add_f16 v12, v11, v3 op_sel:[0,1] op_sel_hi:[1,0]
	v_pk_add_f16 v11, v11, v3 op_sel:[0,1] op_sel_hi:[1,0] neg_lo:[0,1] neg_hi:[0,1]
	v_lshrrev_b32_e32 v15, 16, v3
	v_mul_f16_e32 v17, 0x3be1, v16
	v_fma_f16 v15, v15, -2.0, v12
	v_bfi_b32 v12, s1, v12, v11
	v_lshrrev_b32_e32 v11, 16, v11
	v_fma_f16 v17, v2, s16, -v17
	v_fma_f16 v9, v6, s2, v9
	v_fma_f16 v3, v3, 2.0, v11
	v_mul_f16_e32 v11, 0x3be1, v22
	v_add_f16_e32 v17, v21, v17
	v_sub_f16_e32 v9, v9, v23
	v_fma_f16 v11, v20, s16, -v11
	v_fma_f16 v5, v24, s2, v5
	v_fma_f16 v9, v10, s7, v9
	;; [unrolled: 1-line block ×3, first 2 shown]
	v_pk_add_f16 v1, v16, v1
	v_add_f16_sdwa v11, v21, v11 dst_sel:DWORD dst_unused:UNUSED_PAD src0_sel:WORD_1 src1_sel:DWORD
	v_sub_f16_sdwa v5, v5, v23 dst_sel:DWORD dst_unused:UNUSED_PAD src0_sel:DWORD src1_sel:WORD_1
	v_pk_add_f16 v1, v1, v2 neg_lo:[0,1] neg_hi:[0,1]
	v_pk_add_f16 v2, v6, v4
	v_fma_f16 v11, v18, s6, v11
	v_fma_f16 v5, v13, s7, v5
	v_pk_mul_f16 v1, v1, s0 op_sel_hi:[1,0]
	v_pk_fma_f16 v0, v2, 0.5, v0 op_sel_hi:[1,0,1] neg_lo:[1,0,0] neg_hi:[1,0,0]
	v_add_f16_e32 v9, v11, v9
	v_sub_f16_e32 v5, v5, v10
	v_pk_add_f16 v2, v0, v1 op_sel:[0,1] op_sel_hi:[1,0]
	v_pk_add_f16 v0, v0, v1 op_sel:[0,1] op_sel_hi:[1,0] neg_lo:[0,1] neg_hi:[0,1]
	v_fma_f16 v11, v11, -2.0, v9
	v_fma_f16 v10, v10, 2.0, v5
	v_bfi_b32 v4, s1, v2, v0
	v_lshrrev_b32_e32 v6, 16, v1
	v_lshrrev_b32_e32 v0, 16, v0
	v_fma_f16 v2, v6, -2.0, v2
	v_fma_f16 v0, v1, 2.0, v0
	ds_write2_b32 v42, v12, v4 offset0:2 offset1:3
	v_pack_b32_f16 v1, v9, v5
	v_pack_b32_f16 v4, v11, v10
	v_fma_f16 v14, v19, -2.0, v14
	ds_write2_b32 v42, v1, v4 offset0:4 offset1:5
	v_pack_b32_f16 v0, v2, v0
	v_pack_b32_f16 v1, v15, v3
	ds_write2_b32 v42, v0, v1 offset0:6 offset1:7
	v_pack_b32_f16 v0, v14, v7
	ds_write_b32 v42, v0 offset:32
	v_mov_b32_e32 v0, 57
	v_add_u16_e32 v1, 33, v38
	v_mul_lo_u16_sdwa v2, v1, v0 dst_sel:DWORD dst_unused:UNUSED_PAD src0_sel:BYTE_0 src1_sel:DWORD
	v_lshrrev_b16_e32 v15, 9, v2
	v_mul_lo_u16_e32 v2, 9, v15
	v_sub_u16_e32 v16, v1, v2
	v_mov_b32_e32 v1, 3
	v_lshlrev_b32_sdwa v2, v1, v16 dst_sel:DWORD dst_unused:UNUSED_PAD src0_sel:DWORD src1_sel:BYTE_0
	s_waitcnt lgkmcnt(0)
	s_barrier
	global_load_dwordx2 v[9:10], v2, s[14:15]
	v_add_u16_e32 v2, 0x42, v38
	v_mul_lo_u16_sdwa v3, v2, v0 dst_sel:DWORD dst_unused:UNUSED_PAD src0_sel:BYTE_0 src1_sel:DWORD
	v_mul_lo_u16_sdwa v0, v38, v0 dst_sel:DWORD dst_unused:UNUSED_PAD src0_sel:BYTE_0 src1_sel:DWORD
	v_lshrrev_b16_e32 v17, 9, v0
	v_mul_lo_u16_e32 v0, 9, v17
	v_lshrrev_b16_e32 v19, 9, v3
	v_sub_u16_e32 v18, v38, v0
	v_mul_lo_u16_e32 v3, 9, v19
	v_lshlrev_b16_e32 v0, 1, v18
	v_sub_u16_e32 v20, v2, v3
	v_and_b32_e32 v0, 0xfe, v0
	v_lshlrev_b32_sdwa v1, v1, v20 dst_sel:DWORD dst_unused:UNUSED_PAD src0_sel:DWORD src1_sel:BYTE_0
	v_lshlrev_b32_e32 v0, 2, v0
	global_load_dwordx2 v[11:12], v1, s[14:15]
	global_load_dwordx2 v[13:14], v0, s[14:15]
	ds_read2_b32 v[0:1], v30 offset0:132 offset1:165
	ds_read2_b32 v[2:3], v30 offset0:198 offset1:231
	s_mov_b32 s1, 0xbaee
	s_load_dwordx2 s[2:3], s[4:5], 0x38
	s_waitcnt lgkmcnt(0)
	v_lshrrev_b32_e32 v4, 16, v0
	v_lshrrev_b32_e32 v6, 16, v3
	;; [unrolled: 1-line block ×3, first 2 shown]
	s_waitcnt vmcnt(2)
	v_mul_f16_sdwa v5, v0, v9 dst_sel:DWORD dst_unused:UNUSED_PAD src0_sel:DWORD src1_sel:WORD_1
	v_fma_f16 v25, v4, v9, v5
	v_mul_f16_sdwa v4, v4, v9 dst_sel:DWORD dst_unused:UNUSED_PAD src0_sel:DWORD src1_sel:WORD_1
	v_fma_f16 v0, v0, v9, -v4
	v_mul_f16_sdwa v4, v3, v10 dst_sel:DWORD dst_unused:UNUSED_PAD src0_sel:DWORD src1_sel:WORD_1
	v_fma_f16 v26, v6, v10, v4
	ds_read2_b32 v[4:5], v30 offset1:33
	v_mul_f16_sdwa v6, v6, v10 dst_sel:DWORD dst_unused:UNUSED_PAD src0_sel:DWORD src1_sel:WORD_1
	v_fma_f16 v3, v3, v10, -v6
	v_add_f16_e32 v6, v0, v3
	v_sub_f16_e32 v7, v25, v26
	s_waitcnt lgkmcnt(0)
	v_fma_f16 v6, v6, -0.5, v5
	v_fma_f16 v21, v7, s0, v6
	v_fma_f16 v22, v7, s1, v6
	ds_read2_b32 v[6:7], v30 offset0:66 offset1:99
	s_waitcnt vmcnt(0)
	v_mul_f16_sdwa v24, v23, v14 dst_sel:DWORD dst_unused:UNUSED_PAD src0_sel:DWORD src1_sel:WORD_1
	v_fma_f16 v24, v2, v14, -v24
	v_mul_f16_sdwa v2, v2, v14 dst_sel:DWORD dst_unused:UNUSED_PAD src0_sel:DWORD src1_sel:WORD_1
	v_fma_f16 v2, v23, v14, v2
	s_waitcnt lgkmcnt(0)
	v_lshrrev_b32_e32 v23, 16, v7
	v_mul_f16_sdwa v27, v7, v13 dst_sel:DWORD dst_unused:UNUSED_PAD src0_sel:DWORD src1_sel:WORD_1
	v_fma_f16 v27, v23, v13, v27
	v_lshrrev_b32_e32 v28, 16, v4
	v_add_f16_e32 v43, v28, v27
	v_add_f16_e32 v46, v43, v2
	v_sub_f16_e32 v44, v27, v2
	v_add_f16_e32 v2, v27, v2
	v_mad_legacy_u16 v27, v17, 27, v18
	v_mul_f16_sdwa v17, v23, v13 dst_sel:DWORD dst_unused:UNUSED_PAD src0_sel:DWORD src1_sel:WORD_1
	v_fma_f16 v7, v7, v13, -v17
	v_add_f16_e32 v18, v7, v24
	v_fma_f16 v2, v2, -0.5, v28
	v_add_f16_e32 v17, v4, v7
	v_sub_f16_e32 v7, v7, v24
	v_fma_f16 v4, v18, -0.5, v4
	v_add_f16_e32 v17, v17, v24
	v_fma_f16 v18, v44, s0, v4
	v_and_b32_e32 v23, 0xff, v27
	v_fma_f16 v47, v7, s1, v2
	v_lshl_add_u32 v43, v23, 2, v40
	v_pack_b32_f16 v23, v17, v46
	v_pack_b32_f16 v24, v18, v47
	v_fma_f16 v48, v7, s0, v2
	v_lshrrev_b32_e32 v2, 16, v5
	ds_read_b32 v28, v30 offset:1056
	s_waitcnt lgkmcnt(0)
	s_barrier
	ds_write2_b32 v43, v23, v24 offset1:9
	v_add_f16_e32 v5, v5, v0
	v_fma_f16 v23, v44, s1, v4
	v_add_f16_e32 v4, v2, v25
	v_add_f16_e32 v24, v5, v3
	;; [unrolled: 1-line block ×4, first 2 shown]
	v_sub_f16_e32 v0, v0, v3
	v_pack_b32_f16 v3, v23, v48
	v_fma_f16 v2, v4, -0.5, v2
	ds_write_b32 v43, v3 offset:72
	v_mul_u32_u24_e32 v3, 27, v15
	v_add_u32_sdwa v3, v3, v16 dst_sel:DWORD dst_unused:UNUSED_PAD src0_sel:DWORD src1_sel:BYTE_0
	v_fma_f16 v50, v0, s1, v2
	v_lshl_add_u32 v44, v3, 2, v40
	v_pack_b32_f16 v3, v24, v49
	v_pack_b32_f16 v4, v21, v50
	ds_write2_b32 v44, v3, v4 offset1:9
	v_lshrrev_b32_e32 v3, 16, v1
	v_mul_f16_sdwa v4, v3, v11 dst_sel:DWORD dst_unused:UNUSED_PAD src0_sel:DWORD src1_sel:WORD_1
	v_fma_f16 v4, v1, v11, -v4
	v_mul_f16_sdwa v1, v1, v11 dst_sel:DWORD dst_unused:UNUSED_PAD src0_sel:DWORD src1_sel:WORD_1
	v_fma_f16 v1, v3, v11, v1
	v_lshrrev_b32_e32 v3, 16, v28
	v_mul_f16_sdwa v7, v28, v12 dst_sel:DWORD dst_unused:UNUSED_PAD src0_sel:DWORD src1_sel:WORD_1
	v_fma_f16 v55, v0, s0, v2
	v_lshrrev_b32_e32 v2, 16, v6
	v_mul_f16_sdwa v5, v3, v12 dst_sel:DWORD dst_unused:UNUSED_PAD src0_sel:DWORD src1_sel:WORD_1
	v_fma_f16 v3, v3, v12, v7
	v_add_f16_e32 v7, v2, v1
	v_fma_f16 v5, v28, v12, -v5
	v_add_f16_e32 v57, v7, v3
	v_sub_f16_e32 v7, v1, v3
	v_add_f16_e32 v1, v1, v3
	v_add_f16_e32 v0, v4, v5
	v_fma_f16 v1, v1, -0.5, v2
	v_pack_b32_f16 v2, v22, v55
	v_fma_f16 v0, v0, -0.5, v6
	v_add_f16_e32 v6, v6, v4
	ds_write_b32 v44, v2 offset:72
	v_mul_u32_u24_e32 v2, 27, v19
	v_sub_f16_e32 v3, v4, v5
	v_add_u32_sdwa v2, v2, v20 dst_sel:DWORD dst_unused:UNUSED_PAD src0_sel:DWORD src1_sel:BYTE_0
	v_add_f16_e32 v25, v6, v5
	v_fma_f16 v26, v7, s0, v0
	v_fma_f16 v58, v3, s1, v1
	v_lshl_add_u32 v45, v2, 2, v40
	v_pack_b32_f16 v2, v25, v57
	v_pack_b32_f16 v4, v26, v58
	ds_write2_b32 v45, v2, v4 offset1:9
	v_mov_b32_e32 v2, s13
	v_add_co_u32_e32 v19, vcc, s12, v41
	v_addc_co_u32_e32 v20, vcc, 0, v2, vcc
	v_fma_f16 v59, v3, s0, v1
	v_fma_f16 v27, v7, s1, v0
	v_pack_b32_f16 v0, v27, v59
	v_cmp_gt_u16_e32 vcc, 27, v38
	ds_write_b32 v45, v0 offset:72
	s_waitcnt lgkmcnt(0)
	s_barrier
	s_and_saveexec_b64 s[0:1], vcc
	s_cbranch_execz .LBB0_3
; %bb.2:
	ds_read2_b32 v[17:18], v30 offset1:27
	ds_read2_b32 v[23:24], v30 offset0:54 offset1:81
	ds_read2_b32 v[21:22], v30 offset0:108 offset1:135
	;; [unrolled: 1-line block ×4, first 2 shown]
	ds_read_b32 v61, v30 offset:1080
	s_waitcnt lgkmcnt(5)
	v_lshrrev_b32_e32 v46, 16, v17
	v_lshrrev_b32_e32 v47, 16, v18
	s_waitcnt lgkmcnt(4)
	v_lshrrev_b32_e32 v48, 16, v23
	v_lshrrev_b32_e32 v49, 16, v24
	s_waitcnt lgkmcnt(3)
	v_lshrrev_b32_e32 v50, 16, v21
	v_lshrrev_b32_e32 v55, 16, v22
	s_waitcnt lgkmcnt(2)
	v_lshrrev_b32_e32 v57, 16, v25
	v_lshrrev_b32_e32 v58, 16, v26
	s_waitcnt lgkmcnt(1)
	v_lshrrev_b32_e32 v59, 16, v27
	v_lshrrev_b32_e32 v62, 16, v28
	s_waitcnt lgkmcnt(0)
	v_lshrrev_b32_e32 v63, 16, v61
.LBB0_3:
	s_or_b64 exec, exec, s[0:1]
	v_subrev_u32_e32 v0, 27, v38
	v_cndmask_b32_e32 v0, v0, v38, vcc
	v_mul_hi_i32_i24_e32 v1, 40, v0
	v_mul_i32_i24_e32 v0, 40, v0
	v_mov_b32_e32 v2, s15
	v_add_co_u32_e64 v51, s[0:1], s14, v0
	v_addc_co_u32_e64 v52, s[0:1], v2, v1, s[0:1]
	global_load_dwordx4 v[0:3], v[51:52], off offset:72
	global_load_dwordx4 v[4:7], v[51:52], off offset:88
	global_load_dwordx2 v[15:16], v[51:52], off offset:104
	s_movk_i32 s4, 0x3abb
	s_movk_i32 s5, 0x36a6
	s_mov_b32 s6, 0xb93d
	s_mov_b32 s7, 0xb08e
	;; [unrolled: 1-line block ×7, first 2 shown]
	s_movk_i32 s17, 0x3482
	s_movk_i32 s20, 0x3beb
	s_mov_b32 s19, 0xb482
	s_movk_i32 s21, 0x3853
	s_waitcnt vmcnt(2)
	v_mul_f16_sdwa v56, v47, v0 dst_sel:DWORD dst_unused:UNUSED_PAD src0_sel:DWORD src1_sel:WORD_1
	v_mul_f16_sdwa v60, v18, v0 dst_sel:DWORD dst_unused:UNUSED_PAD src0_sel:DWORD src1_sel:WORD_1
	;; [unrolled: 1-line block ×6, first 2 shown]
	s_waitcnt vmcnt(1)
	v_mul_f16_sdwa v67, v22, v4 dst_sel:DWORD dst_unused:UNUSED_PAD src0_sel:DWORD src1_sel:WORD_1
	s_waitcnt vmcnt(0)
	v_mul_f16_sdwa v76, v63, v16 dst_sel:DWORD dst_unused:UNUSED_PAD src0_sel:DWORD src1_sel:WORD_1
	v_mul_f16_sdwa v77, v61, v16 dst_sel:DWORD dst_unused:UNUSED_PAD src0_sel:DWORD src1_sel:WORD_1
	v_mul_f16_sdwa v51, v48, v1 dst_sel:DWORD dst_unused:UNUSED_PAD src0_sel:DWORD src1_sel:WORD_1
	v_mul_f16_sdwa v53, v50, v3 dst_sel:DWORD dst_unused:UNUSED_PAD src0_sel:DWORD src1_sel:WORD_1
	v_mul_f16_sdwa v54, v55, v4 dst_sel:DWORD dst_unused:UNUSED_PAD src0_sel:DWORD src1_sel:WORD_1
	v_mul_f16_sdwa v68, v57, v5 dst_sel:DWORD dst_unused:UNUSED_PAD src0_sel:DWORD src1_sel:WORD_1
	v_mul_f16_sdwa v69, v25, v5 dst_sel:DWORD dst_unused:UNUSED_PAD src0_sel:DWORD src1_sel:WORD_1
	v_mul_f16_sdwa v70, v58, v6 dst_sel:DWORD dst_unused:UNUSED_PAD src0_sel:DWORD src1_sel:WORD_1
	v_mul_f16_sdwa v71, v26, v6 dst_sel:DWORD dst_unused:UNUSED_PAD src0_sel:DWORD src1_sel:WORD_1
	v_mul_f16_sdwa v72, v59, v7 dst_sel:DWORD dst_unused:UNUSED_PAD src0_sel:DWORD src1_sel:WORD_1
	v_mul_f16_sdwa v73, v27, v7 dst_sel:DWORD dst_unused:UNUSED_PAD src0_sel:DWORD src1_sel:WORD_1
	v_mul_f16_sdwa v74, v62, v15 dst_sel:DWORD dst_unused:UNUSED_PAD src0_sel:DWORD src1_sel:WORD_1
	v_mul_f16_sdwa v75, v28, v15 dst_sel:DWORD dst_unused:UNUSED_PAD src0_sel:DWORD src1_sel:WORD_1
	v_fma_f16 v52, v24, v2, -v52
	v_fma_f16 v24, v47, v0, v60
	v_fma_f16 v47, v48, v1, v64
	;; [unrolled: 1-line block ×5, first 2 shown]
	v_fma_f16 v60, v18, v0, -v56
	v_fma_f16 v61, v61, v16, -v76
	v_fma_f16 v55, v63, v16, v77
	v_fma_f16 v51, v23, v1, -v51
	v_fma_f16 v56, v25, v5, -v68
	v_fma_f16 v25, v57, v5, v69
	v_fma_f16 v57, v26, v6, -v70
	v_fma_f16 v26, v58, v6, v71
	;; [unrolled: 2-line block ×4, first 2 shown]
	v_sub_f16_e32 v76, v60, v61
	v_sub_f16_e32 v90, v24, v55
	v_add_f16_e32 v69, v60, v61
	v_add_f16_e32 v94, v24, v55
	v_sub_f16_e32 v89, v47, v28
	v_sub_f16_e32 v77, v51, v59
	v_mul_f16_e32 v63, 0xb853, v90
	v_mul_f16_e32 v66, 0xb853, v76
	;; [unrolled: 1-line block ×3, first 2 shown]
	v_fma_f16 v54, v22, v4, -v54
	v_add_f16_e32 v70, v51, v59
	v_add_f16_e32 v95, v47, v28
	v_sub_f16_e32 v91, v48, v27
	v_mul_f16_e32 v62, 0xbb47, v89
	v_mul_f16_e32 v65, 0xbb47, v77
	;; [unrolled: 1-line block ×3, first 2 shown]
	v_fma_f16 v18, v69, s4, v63
	v_fma_f16 v22, v94, s4, -v66
	v_fma_f16 v74, v69, s5, v68
	v_fma_f16 v53, v21, v3, -v53
	v_add_f16_e32 v71, v52, v58
	v_mul_f16_e32 v73, 0xbb47, v76
	v_mul_f16_e32 v64, 0xbbeb, v91
	v_fma_f16 v21, v70, s5, v62
	v_fma_f16 v23, v95, s5, -v65
	v_fma_f16 v75, v70, s6, v67
	v_add_f16_e32 v18, v17, v18
	v_add_f16_e32 v22, v46, v22
	;; [unrolled: 1-line block ×3, first 2 shown]
	v_mul_f16_e32 v72, 0xba0c, v77
	v_fma_f16 v78, v94, s5, -v73
	v_add_f16_e32 v18, v21, v18
	v_add_f16_e32 v21, v23, v22
	;; [unrolled: 1-line block ×3, first 2 shown]
	v_fma_f16 v74, v71, s7, v64
	v_sub_f16_e32 v83, v52, v58
	v_fma_f16 v79, v95, s6, -v72
	v_add_f16_e32 v78, v46, v78
	v_add_f16_e32 v18, v74, v18
	;; [unrolled: 1-line block ×3, first 2 shown]
	v_mul_f16_e32 v74, 0xbbeb, v83
	v_add_f16_e32 v23, v79, v78
	v_fma_f16 v75, v98, s7, -v74
	v_mul_f16_e32 v78, 0x3482, v91
	v_add_f16_e32 v21, v75, v21
	v_fma_f16 v75, v71, s14, v78
	v_mul_f16_e32 v81, 0x3482, v83
	v_add_f16_e32 v22, v75, v22
	v_fma_f16 v75, v98, s14, -v81
	v_sub_f16_e32 v97, v49, v26
	v_add_f16_e32 v23, v75, v23
	v_add_f16_e32 v84, v53, v57
	v_mul_f16_e32 v75, 0xba0c, v97
	v_fma_f16 v79, v84, s6, v75
	v_sub_f16_e32 v87, v53, v57
	v_add_f16_e32 v18, v79, v18
	v_add_f16_e32 v100, v49, v26
	v_mul_f16_e32 v79, 0xba0c, v87
	v_fma_f16 v80, v100, s6, -v79
	v_mul_f16_e32 v82, 0x3beb, v97
	v_add_f16_e32 v21, v80, v21
	v_fma_f16 v80, v84, s7, v82
	v_mul_f16_e32 v86, 0x3beb, v87
	v_sub_f16_e32 v99, v50, v25
	v_add_f16_e32 v102, v80, v22
	v_fma_f16 v22, v100, s7, -v86
	v_add_f16_e32 v88, v54, v56
	v_mul_f16_e32 v80, 0xb482, v99
	v_sub_f16_e32 v96, v54, v56
	v_add_f16_e32 v93, v22, v23
	v_fma_f16 v22, v88, s14, v80
	v_add_f16_e32 v101, v50, v25
	v_mul_f16_e32 v85, 0xb482, v96
	v_add_f16_e32 v22, v22, v18
	v_fma_f16 v18, v101, s14, -v85
	v_mul_f16_e32 v92, 0x3853, v96
	v_add_f16_e32 v23, v18, v21
	v_fma_f16 v18, v101, s4, -v92
	v_add_f16_e32 v21, v18, v93
	v_mul_f16_e32 v93, 0x3853, v99
	v_fma_f16 v18, v88, s4, v93
	v_add_f16_e32 v18, v18, v102
	s_and_saveexec_b64 s[0:1], vcc
	s_cbranch_execz .LBB0_5
; %bb.4:
	v_mul_f16_e32 v120, 0xb08e, v94
	v_fma_f16 v121, v76, s20, v120
	v_mul_f16_e32 v122, 0xbbad, v95
	v_add_f16_e32 v121, v46, v121
	v_fma_f16 v123, v77, s19, v122
	v_add_f16_e32 v121, v123, v121
	v_mul_f16_e32 v123, 0x36a6, v98
	v_fma_f16 v124, v83, s22, v123
	v_add_f16_e32 v121, v124, v121
	v_mul_f16_e32 v124, 0x3abb, v100
	;; [unrolled: 3-line block ×3, first 2 shown]
	s_movk_i32 s23, 0x3a0c
	v_fma_f16 v126, v96, s23, v125
	v_add_f16_e32 v121, v126, v121
	v_mul_f16_e32 v126, 0xbbeb, v90
	v_fma_f16 v127, v69, s7, v126
	v_mul_f16_e32 v128, 0x3482, v89
	v_add_f16_e32 v127, v17, v127
	v_fma_f16 v129, v70, s14, v128
	v_add_f16_e32 v127, v129, v127
	v_mul_f16_e32 v129, 0x3b47, v91
	v_fma_f16 v130, v71, s5, v129
	v_add_f16_e32 v127, v130, v127
	v_mul_f16_e32 v130, 0xb853, v97
	v_fma_f16 v131, v84, s4, v130
	v_add_f16_e32 v127, v131, v127
	v_mul_f16_e32 v131, 0xba0c, v99
	v_fma_f16 v132, v88, s6, v131
	v_add_f16_e32 v127, v132, v127
	v_mul_f16_e32 v132, 0xb93d, v94
	v_fma_f16 v133, v76, s23, v132
	v_mul_f16_e32 v134, 0xb08e, v95
	v_add_f16_e32 v133, v46, v133
	v_fma_f16 v135, v77, s18, v134
	v_add_f16_e32 v133, v135, v133
	v_mul_f16_e32 v135, 0x3abb, v98
	v_fma_f16 v136, v83, s21, v135
	v_add_f16_e32 v133, v136, v133
	v_mul_f16_e32 v136, 0xbbad, v100
	v_fma_f16 v137, v87, s17, v136
	v_add_f16_e32 v133, v137, v133
	v_mul_f16_e32 v137, 0x36a6, v101
	;; [unrolled: 15-line block ×3, first 2 shown]
	v_mul_f16_e32 v103, 0x3abb, v94
	v_mul_f16_e32 v105, 0x36a6, v94
	v_fma_f16 v144, v88, s5, v143
	v_mul_f16_e32 v94, 0xbbad, v94
	v_mul_f16_e32 v107, 0x36a6, v95
	v_mul_f16_e32 v109, 0xb93d, v95
	v_add_f16_e32 v139, v144, v139
	v_fma_f16 v144, v76, s17, v94
	v_mul_f16_e32 v95, 0x3abb, v95
	v_mul_f16_e32 v111, 0xb08e, v98
	v_mul_f16_e32 v113, 0xbbad, v98
	v_add_f16_e32 v144, v46, v144
	;; [unrolled: 5-line block ×3, first 2 shown]
	v_fma_f16 v145, v83, s23, v98
	v_mul_f16_e32 v100, 0x36a6, v100
	v_add_f16_e32 v144, v145, v144
	v_fma_f16 v145, v87, s22, v100
	v_add_f16_e32 v144, v145, v144
	v_mul_f16_e32 v145, 0xb08e, v101
	v_fma_f16 v146, v96, s20, v145
	v_mul_f16_e32 v90, 0xb482, v90
	v_add_f16_e32 v144, v146, v144
	v_fma_f16 v146, v69, s14, v90
	v_mul_f16_e32 v89, 0x3853, v89
	v_fma_f16 v90, v69, s14, -v90
	v_fma_f16 v147, v70, s4, v89
	v_mul_f16_e32 v91, 0xba0c, v91
	v_add_f16_e32 v90, v17, v90
	v_fma_f16 v89, v70, s4, -v89
	v_mul_f16_e32 v97, 0x3b47, v97
	v_add_f16_e32 v89, v89, v90
	v_fma_f16 v90, v71, s6, -v91
	;; [unrolled: 3-line block ×3, first 2 shown]
	v_add_f16_e32 v89, v90, v89
	v_fma_f16 v90, v88, s7, -v99
	v_add_f16_e32 v146, v17, v146
	v_add_f16_e32 v89, v90, v89
	v_fma_f16 v90, v76, s16, v132
	v_add_f16_e32 v146, v147, v146
	v_fma_f16 v147, v71, s6, v91
	;; [unrolled: 2-line block ×3, first 2 shown]
	v_fma_f16 v94, v76, s19, v94
	v_add_f16_e32 v90, v91, v90
	v_fma_f16 v91, v83, s15, v135
	s_movk_i32 s22, 0x3b47
	v_add_f16_e32 v94, v46, v94
	v_fma_f16 v95, v77, s21, v95
	v_add_f16_e32 v90, v91, v90
	v_fma_f16 v91, v87, s19, v136
	v_mul_f16_e32 v102, 0x3abb, v69
	v_mul_f16_e32 v104, 0x36a6, v69
	v_add_f16_e32 v94, v95, v94
	v_fma_f16 v95, v83, s16, v98
	v_add_f16_e32 v90, v91, v90
	v_fma_f16 v91, v96, s22, v137
	;; [unrolled: 2-line block ×3, first 2 shown]
	v_add_f16_e32 v90, v91, v90
	v_fma_f16 v91, v69, s6, -v138
	v_fma_f16 v69, v69, s7, -v126
	v_sub_f16_e32 v68, v104, v68
	v_sub_f16_e32 v63, v102, v63
	v_add_f16_e32 v94, v95, v94
	v_fma_f16 v95, v96, s18, v145
	v_add_f16_e32 v91, v17, v91
	v_add_f16_e32 v69, v17, v69
	;; [unrolled: 1-line block ×6, first 2 shown]
	v_mul_f16_e32 v106, 0x36a6, v70
	v_mul_f16_e32 v108, 0xb93d, v70
	v_add_f16_e32 v94, v95, v94
	v_fma_f16 v95, v70, s7, -v140
	v_fma_f16 v70, v70, s14, -v128
	v_add_f16_e32 v17, v17, v51
	v_add_f16_e32 v24, v24, v47
	v_add_f16_e32 v69, v70, v69
	v_fma_f16 v70, v71, s5, -v129
	v_add_f16_e32 v17, v17, v52
	v_add_f16_e32 v24, v24, v48
	v_add_f16_e32 v69, v70, v69
	;; [unrolled: 4-line block ×4, first 2 shown]
	v_add_f16_e32 v70, v73, v105
	v_add_f16_e32 v66, v66, v103
	;; [unrolled: 1-line block ×4, first 2 shown]
	v_mul_f16_e32 v110, 0xb08e, v71
	v_mul_f16_e32 v112, 0xbbad, v71
	v_add_f16_e32 v146, v147, v146
	v_fma_f16 v147, v84, s5, v97
	v_add_f16_e32 v91, v95, v91
	v_fma_f16 v95, v71, s4, -v141
	v_fma_f16 v76, v76, s18, v120
	v_add_f16_e32 v70, v46, v70
	v_add_f16_e32 v71, v72, v109
	v_sub_f16_e32 v67, v108, v67
	v_add_f16_e32 v66, v46, v66
	v_add_f16_e32 v65, v65, v107
	v_sub_f16_e32 v62, v106, v62
	v_add_f16_e32 v17, v17, v57
	v_add_f16_e32 v24, v24, v26
	v_mul_f16_e32 v114, 0xb93d, v84
	v_mul_f16_e32 v116, 0xb08e, v84
	v_add_f16_e32 v146, v147, v146
	v_fma_f16 v147, v88, s7, v99
	v_add_f16_e32 v76, v46, v76
	v_fma_f16 v77, v77, s17, v122
	v_add_f16_e32 v70, v71, v70
	v_add_f16_e32 v71, v81, v113
	;; [unrolled: 1-line block ×3, first 2 shown]
	v_sub_f16_e32 v68, v112, v78
	v_add_f16_e32 v65, v65, v66
	v_add_f16_e32 v66, v74, v111
	;; [unrolled: 1-line block ×3, first 2 shown]
	v_sub_f16_e32 v63, v110, v64
	v_add_f16_e32 v17, v17, v58
	v_add_f16_e32 v24, v24, v27
	v_mul_f16_e32 v118, 0xbbad, v88
	v_mul_f16_e32 v119, 0xbbad, v101
	v_add_f16_e32 v146, v147, v146
	v_mul_f16_e32 v147, 0x3abb, v88
	v_mul_f16_e32 v101, 0x3abb, v101
	v_add_f16_e32 v76, v77, v76
	v_fma_f16 v77, v83, s22, v123
	v_add_f16_e32 v70, v71, v70
	v_add_f16_e32 v71, v86, v117
	;; [unrolled: 1-line block ×3, first 2 shown]
	v_sub_f16_e32 v68, v116, v82
	v_add_f16_e32 v65, v66, v65
	v_add_f16_e32 v66, v79, v115
	v_add_f16_e32 v62, v63, v62
	v_sub_f16_e32 v63, v114, v75
	v_add_f16_e32 v17, v17, v59
	v_add_f16_e32 v24, v24, v28
	;; [unrolled: 1-line block ×3, first 2 shown]
	v_fma_f16 v95, v84, s14, -v142
	v_add_f16_e32 v76, v77, v76
	v_fma_f16 v77, v87, s15, v124
	v_add_f16_e32 v70, v71, v70
	v_add_f16_e32 v71, v92, v101
	;; [unrolled: 1-line block ×3, first 2 shown]
	v_sub_f16_e32 v68, v147, v93
	v_add_f16_e32 v65, v66, v65
	v_add_f16_e32 v66, v85, v119
	;; [unrolled: 1-line block ×3, first 2 shown]
	v_sub_f16_e32 v63, v118, v80
	v_add_f16_e32 v17, v17, v61
	v_add_f16_e32 v24, v24, v55
	;; [unrolled: 1-line block ×3, first 2 shown]
	v_fma_f16 v95, v88, s5, -v143
	v_add_f16_e32 v76, v77, v76
	v_fma_f16 v77, v96, s16, v125
	v_add_f16_e32 v70, v71, v70
	v_add_f16_e32 v67, v68, v67
	;; [unrolled: 1-line block ×4, first 2 shown]
	v_pack_b32_f16 v17, v17, v24
	v_add_f16_e32 v91, v95, v91
	v_add_f16_e32 v76, v77, v76
	ds_write_b32 v30, v17
	v_lshl_add_u32 v17, v38, 2, v40
	v_pack_b32_f16 v24, v62, v65
	v_pack_b32_f16 v25, v67, v70
	ds_write2_b32 v17, v24, v25 offset0:27 offset1:54
	v_pack_b32_f16 v24, v69, v76
	v_pack_b32_f16 v25, v91, v90
	ds_write2_b32 v17, v24, v25 offset0:81 offset1:108
	;; [unrolled: 3-line block ×3, first 2 shown]
	v_pack_b32_f16 v24, v139, v133
	v_pack_b32_f16 v25, v127, v121
	s_mov_b32 s4, 0x5040100
	ds_write2_b32 v17, v24, v25 offset0:189 offset1:216
	v_perm_b32 v24, v21, v18, s4
	v_perm_b32 v25, v23, v22, s4
	v_add_u32_e32 v17, 0x200, v17
	ds_write2_b32 v17, v24, v25 offset0:115 offset1:142
.LBB0_5:
	s_or_b64 exec, exec, s[0:1]
	s_waitcnt lgkmcnt(0)
	s_barrier
	global_load_dword v17, v[19:20], off offset:1188
	s_add_u32 s0, s12, 0x4a4
	s_addc_u32 s1, s13, 0
	global_load_dword v28, v41, s[0:1] offset:132
	global_load_dword v48, v41, s[0:1] offset:264
	global_load_dword v49, v41, s[0:1] offset:396
	global_load_dword v50, v41, s[0:1] offset:528
	global_load_dword v51, v41, s[0:1] offset:660
	global_load_dword v52, v41, s[0:1] offset:792
	global_load_dword v53, v41, s[0:1] offset:924
	global_load_dword v54, v41, s[0:1] offset:1056
	ds_read2_b32 v[19:20], v30 offset1:33
	ds_read2_b32 v[24:25], v30 offset0:66 offset1:99
	ds_read2_b32 v[26:27], v30 offset0:132 offset1:165
	;; [unrolled: 1-line block ×3, first 2 shown]
	ds_read_b32 v41, v30 offset:1056
	s_waitcnt lgkmcnt(4)
	v_lshrrev_b32_e32 v55, 16, v19
	v_lshrrev_b32_e32 v56, 16, v20
	s_waitcnt lgkmcnt(3)
	v_lshrrev_b32_e32 v57, 16, v24
	v_lshrrev_b32_e32 v58, 16, v25
	;; [unrolled: 3-line block ×4, first 2 shown]
	s_waitcnt lgkmcnt(0)
	v_lshrrev_b32_e32 v63, 16, v41
	s_mov_b32 s12, 0xb924
	s_movk_i32 s5, 0x3be1
	s_movk_i32 s0, 0x3a21
	s_movk_i32 s4, 0x3aee
	s_movk_i32 s1, 0x318f
	s_movk_i32 s6, 0x3579
	s_mov_b32 s7, 0xbb84
	s_waitcnt vmcnt(5)
	v_mul_f16_sdwa v66, v58, v49 dst_sel:DWORD dst_unused:UNUSED_PAD src0_sel:DWORD src1_sel:WORD_1
	v_mul_f16_sdwa v67, v25, v49 dst_sel:DWORD dst_unused:UNUSED_PAD src0_sel:DWORD src1_sel:WORD_1
	v_mul_f16_sdwa v64, v55, v17 dst_sel:DWORD dst_unused:UNUSED_PAD src0_sel:DWORD src1_sel:WORD_1
	v_mul_f16_sdwa v65, v19, v17 dst_sel:DWORD dst_unused:UNUSED_PAD src0_sel:DWORD src1_sel:WORD_1
	v_fma_f16 v19, v19, v17, -v64
	v_fma_f16 v17, v55, v17, v65
	v_pack_b32_f16 v17, v19, v17
	v_mul_f16_sdwa v19, v56, v28 dst_sel:DWORD dst_unused:UNUSED_PAD src0_sel:DWORD src1_sel:WORD_1
	v_mul_f16_sdwa v55, v20, v28 dst_sel:DWORD dst_unused:UNUSED_PAD src0_sel:DWORD src1_sel:WORD_1
	;; [unrolled: 1-line block ×4, first 2 shown]
	s_waitcnt vmcnt(4)
	v_mul_f16_sdwa v68, v59, v50 dst_sel:DWORD dst_unused:UNUSED_PAD src0_sel:DWORD src1_sel:WORD_1
	v_mul_f16_sdwa v69, v26, v50 dst_sel:DWORD dst_unused:UNUSED_PAD src0_sel:DWORD src1_sel:WORD_1
	s_waitcnt vmcnt(3)
	v_mul_f16_sdwa v70, v60, v51 dst_sel:DWORD dst_unused:UNUSED_PAD src0_sel:DWORD src1_sel:WORD_1
	v_mul_f16_sdwa v71, v27, v51 dst_sel:DWORD dst_unused:UNUSED_PAD src0_sel:DWORD src1_sel:WORD_1
	;; [unrolled: 3-line block ×5, first 2 shown]
	v_fma_f16 v19, v20, v28, -v19
	v_fma_f16 v20, v56, v28, v55
	v_fma_f16 v24, v24, v48, -v64
	v_fma_f16 v28, v57, v48, v65
	;; [unrolled: 2-line block ×8, first 2 shown]
	v_pack_b32_f16 v19, v19, v20
	v_pack_b32_f16 v20, v24, v28
	;; [unrolled: 1-line block ×8, first 2 shown]
	ds_write2_b32 v30, v17, v19 offset1:33
	ds_write2_b32 v30, v20, v24 offset0:66 offset1:99
	ds_write2_b32 v30, v25, v26 offset0:132 offset1:165
	;; [unrolled: 1-line block ×3, first 2 shown]
	ds_write_b32 v30, v41 offset:1056
	s_waitcnt lgkmcnt(0)
	s_barrier
	ds_read2_b32 v[19:20], v30 offset1:33
	ds_read2_b32 v[24:25], v30 offset0:66 offset1:99
	ds_read_b32 v17, v30 offset:1056
	ds_read2_b32 v[26:27], v30 offset0:198 offset1:231
	ds_read2_b32 v[46:47], v30 offset0:132 offset1:165
	s_waitcnt lgkmcnt(4)
	v_lshrrev_b32_e32 v51, 16, v19
	s_waitcnt lgkmcnt(0)
	v_pk_add_f16 v28, v20, v17
	v_pk_add_f16 v41, v24, v27
	;; [unrolled: 1-line block ×4, first 2 shown]
	v_pk_add_f16 v58, v46, v47 neg_lo:[0,1] neg_hi:[0,1]
	v_pk_add_f16 v55, v48, v54
	v_pk_add_f16 v17, v20, v17 neg_lo:[0,1] neg_hi:[0,1]
	v_pk_mul_f16 v61, v58, s12 op_sel_hi:[1,0]
	v_pk_add_f16 v55, v46, v55
	v_pk_add_f16 v20, v24, v27 neg_lo:[0,1] neg_hi:[0,1]
	v_pk_add_f16 v24, v25, v26 neg_lo:[0,1] neg_hi:[0,1]
	v_pk_add_f16 v46, v46, v47
	v_pk_fma_f16 v61, v17, s5, v61 op_sel_hi:[1,0,1]
	v_lshrrev_b32_e32 v49, 16, v28
	v_pk_mul_f16 v25, v24, s4 op_sel_hi:[1,0]
	v_pk_fma_f16 v24, v24, s4, v61 op_sel_hi:[1,0,1] neg_lo:[1,0,0] neg_hi:[1,0,0]
	v_pk_fma_f16 v61, v46, s0, v19 op_sel_hi:[1,0,1]
	v_fma_f16 v52, v49, s0, v51
	v_lshrrev_b32_e32 v53, 16, v41
	v_lshrrev_b32_e32 v27, 16, v17
	v_pk_fma_f16 v61, v28, s1, v61 op_sel_hi:[1,0,1]
	v_fma_f16 v50, v28, s0, v19
	v_fma_f16 v52, v53, s1, v52
	;; [unrolled: 1-line block ×3, first 2 shown]
	v_mul_f16_e32 v53, 0x3924, v27
	v_lshrrev_b32_e32 v57, 16, v20
	v_pk_fma_f16 v61, v48, 0.5, v61 op_sel_hi:[1,0,1] neg_lo:[1,0,0] neg_hi:[1,0,0]
	v_fma_f16 v50, v41, s1, v50
	v_fma_f16 v56, v41, s0, v19
	;; [unrolled: 1-line block ×3, first 2 shown]
	v_pk_fma_f16 v24, v20, s6, v24 op_sel_hi:[1,0,1]
	v_pk_fma_f16 v41, v41, s7, v61 op_sel_hi:[1,0,1]
	v_add_f16_sdwa v53, v25, v53 dst_sel:DWORD dst_unused:UNUSED_PAD src0_sel:WORD_1 src1_sel:DWORD
	v_lshrrev_b32_e32 v59, 16, v58
	v_pk_add_f16 v61, v41, v24 op_sel:[0,1] op_sel_hi:[1,0] neg_lo:[0,1] neg_hi:[0,1]
	v_pk_add_f16 v41, v41, v24 op_sel:[0,1] op_sel_hi:[1,0]
	s_mov_b32 s0, 0xffff
	v_mul_f16_e32 v26, 0x3924, v17
	v_fma_f16 v53, v59, s6, v53
	v_bfi_b32 v41, s0, v61, v41
	v_mul_f16_e32 v61, 0x3be1, v58
	v_mul_f16_e32 v59, 0x3be1, v59
	v_fma_f16 v26, v20, s5, v26
	v_pk_mul_f16 v60, v48, 0.5 op_sel_hi:[1,0]
	v_fma_f16 v61, v20, s12, -v61
	v_fma_f16 v57, v57, s12, -v59
	v_pk_add_f16 v55, v47, v55
	v_add_f16_e32 v26, v25, v26
	v_sub_f16_sdwa v52, v52, v60 dst_sel:DWORD dst_unused:UNUSED_PAD src0_sel:DWORD src1_sel:WORD_1
	v_lshrrev_b32_e32 v47, 16, v46
	v_add_f16_e32 v59, v25, v61
	v_add_f16_sdwa v25, v25, v57 dst_sel:DWORD dst_unused:UNUSED_PAD src0_sel:WORD_1 src1_sel:DWORD
	v_fma_f16 v52, v47, s7, v52
	v_fma_f16 v25, v27, s6, v25
	;; [unrolled: 1-line block ×5, first 2 shown]
	v_sub_f16_e32 v27, v27, v60
	v_sub_f16_sdwa v47, v47, v60 dst_sel:DWORD dst_unused:UNUSED_PAD src0_sel:DWORD src1_sel:WORD_1
	v_pk_add_f16 v17, v58, v17
	v_pk_add_f16 v55, v55, v19
	v_fma_f16 v27, v28, s7, v27
	v_fma_f16 v28, v49, s7, v47
	v_pk_add_f16 v19, v48, v19
	v_pk_add_f16 v17, v17, v20 neg_lo:[0,1] neg_hi:[0,1]
	v_pk_add_f16 v20, v46, v54
	v_sub_f16_e32 v27, v27, v25
	v_add_f16_e32 v28, v57, v28
	v_pk_mul_f16 v17, v17, s4 op_sel_hi:[1,0]
	v_pk_fma_f16 v19, v20, 0.5, v19 op_sel_hi:[1,0,1] neg_lo:[1,0,0] neg_hi:[1,0,0]
	v_sub_f16_e32 v50, v50, v60
	v_fma_f16 v25, v25, 2.0, v27
	v_fma_f16 v47, v57, -2.0, v28
	v_pk_add_f16 v20, v19, v17 op_sel:[0,1] op_sel_hi:[1,0] neg_lo:[0,1] neg_hi:[0,1]
	v_pk_add_f16 v19, v19, v17 op_sel:[0,1] op_sel_hi:[1,0]
	v_fma_f16 v26, v58, s6, v26
	v_fma_f16 v50, v46, s7, v50
	v_bfi_b32 v19, s0, v20, v19
	v_pack_b32_f16 v20, v27, v28
	v_pack_b32_f16 v25, v25, v47
	s_barrier
	v_sub_f16_e32 v50, v50, v53
	v_add_f16_e32 v52, v26, v52
	ds_write2_b32 v42, v20, v25 offset0:4 offset1:5
	v_pk_fma_f16 v20, v24, 2.0, v41 op_sel:[1,0,0] op_sel_hi:[0,0,1]
	v_pk_fma_f16 v25, v17, 2.0, v19 op_sel:[1,0,0] op_sel_hi:[0,0,1]
	v_pk_fma_f16 v24, v24, 2.0, v41 op_sel:[1,0,0] op_sel_hi:[0,0,1] neg_lo:[1,0,0] neg_hi:[1,0,0]
	v_pk_fma_f16 v17, v17, 2.0, v19 op_sel:[1,0,0] op_sel_hi:[0,0,1] neg_lo:[1,0,0] neg_hi:[1,0,0]
	v_fma_f16 v53, v53, 2.0, v50
	v_fma_f16 v26, v26, -2.0, v52
	ds_write2_b32 v42, v41, v19 offset0:2 offset1:3
	v_bfi_b32 v17, s0, v25, v17
	v_bfi_b32 v19, s0, v20, v24
	v_pack_b32_f16 v49, v50, v52
	ds_write2_b32 v42, v17, v19 offset0:6 offset1:7
	v_pack_b32_f16 v17, v53, v26
	ds_write2_b32 v42, v55, v49 offset1:1
	ds_write_b32 v42, v17 offset:32
	s_waitcnt lgkmcnt(0)
	s_barrier
	ds_read2_b32 v[19:20], v30 offset1:33
	ds_read2_b32 v[41:42], v30 offset0:66 offset1:99
	ds_read2_b32 v[24:25], v30 offset0:198 offset1:231
	;; [unrolled: 1-line block ×3, first 2 shown]
	ds_read_b32 v48, v30 offset:1056
	s_waitcnt lgkmcnt(4)
	v_lshrrev_b32_e32 v17, 16, v19
	s_waitcnt lgkmcnt(3)
	v_lshrrev_b32_e32 v28, 16, v42
	v_mul_f16_sdwa v54, v13, v28 dst_sel:DWORD dst_unused:UNUSED_PAD src0_sel:WORD_1 src1_sel:DWORD
	s_waitcnt lgkmcnt(2)
	v_lshrrev_b32_e32 v46, 16, v24
	v_fma_f16 v54, v13, v42, v54
	v_mul_f16_sdwa v42, v13, v42 dst_sel:DWORD dst_unused:UNUSED_PAD src0_sel:WORD_1 src1_sel:DWORD
	v_fma_f16 v28, v13, v28, -v42
	v_mul_f16_sdwa v13, v14, v46 dst_sel:DWORD dst_unused:UNUSED_PAD src0_sel:WORD_1 src1_sel:DWORD
	s_waitcnt lgkmcnt(1)
	v_lshrrev_b32_e32 v49, 16, v26
	v_fma_f16 v42, v14, v24, v13
	v_mul_f16_sdwa v13, v14, v24 dst_sel:DWORD dst_unused:UNUSED_PAD src0_sel:WORD_1 src1_sel:DWORD
	v_fma_f16 v14, v14, v46, -v13
	v_mul_f16_sdwa v13, v9, v49 dst_sel:DWORD dst_unused:UNUSED_PAD src0_sel:WORD_1 src1_sel:DWORD
	v_lshrrev_b32_e32 v50, 16, v25
	v_fma_f16 v46, v9, v26, v13
	v_mul_f16_sdwa v13, v9, v26 dst_sel:DWORD dst_unused:UNUSED_PAD src0_sel:WORD_1 src1_sel:DWORD
	v_fma_f16 v26, v9, v49, -v13
	v_mul_f16_sdwa v9, v10, v50 dst_sel:DWORD dst_unused:UNUSED_PAD src0_sel:WORD_1 src1_sel:DWORD
	;; [unrolled: 5-line block ×3, first 2 shown]
	s_waitcnt lgkmcnt(0)
	v_lshrrev_b32_e32 v53, 16, v48
	v_fma_f16 v50, v11, v27, v9
	v_mul_f16_sdwa v9, v11, v27 dst_sel:DWORD dst_unused:UNUSED_PAD src0_sel:WORD_1 src1_sel:DWORD
	v_fma_f16 v52, v11, v52, -v9
	v_mul_f16_sdwa v9, v12, v53 dst_sel:DWORD dst_unused:UNUSED_PAD src0_sel:WORD_1 src1_sel:DWORD
	v_fma_f16 v55, v12, v48, v9
	v_mul_f16_sdwa v9, v12, v48 dst_sel:DWORD dst_unused:UNUSED_PAD src0_sel:WORD_1 src1_sel:DWORD
	v_add_f16_e32 v10, v54, v42
	v_fma_f16 v48, v12, v53, -v9
	v_fma_f16 v11, v10, -0.5, v19
	v_sub_f16_e32 v12, v28, v14
	s_mov_b32 s0, 0xbaee
	v_fma_f16 v10, v12, s0, v11
	v_fma_f16 v13, v12, s4, v11
	v_add_f16_e32 v11, v17, v28
	v_add_f16_e32 v24, v11, v14
	;; [unrolled: 1-line block ×4, first 2 shown]
	v_fma_f16 v11, v11, -0.5, v17
	v_sub_f16_e32 v12, v54, v42
	v_add_f16_e32 v9, v9, v42
	v_fma_f16 v42, v12, s4, v11
	v_fma_f16 v28, v12, s0, v11
	v_add_f16_e32 v11, v20, v46
	v_add_f16_e32 v14, v11, v49
	;; [unrolled: 1-line block ×3, first 2 shown]
	v_lshrrev_b32_e32 v47, 16, v20
	v_fma_f16 v12, v11, -0.5, v20
	v_sub_f16_e32 v17, v26, v25
	v_fma_f16 v11, v17, s0, v12
	v_fma_f16 v12, v17, s4, v12
	v_add_f16_e32 v17, v47, v26
	v_add_f16_e32 v27, v17, v25
	;; [unrolled: 1-line block ×3, first 2 shown]
	v_fma_f16 v17, v17, -0.5, v47
	v_sub_f16_e32 v19, v46, v49
	v_fma_f16 v26, v19, s4, v17
	v_fma_f16 v25, v19, s0, v17
	v_add_f16_e32 v17, v41, v50
	v_add_f16_e32 v19, v17, v55
	;; [unrolled: 1-line block ×3, first 2 shown]
	v_lshrrev_b32_e32 v51, 16, v41
	v_fma_f16 v17, v17, -0.5, v41
	v_sub_f16_e32 v41, v52, v48
	v_fma_f16 v20, v41, s0, v17
	v_fma_f16 v17, v41, s4, v17
	v_add_f16_e32 v41, v51, v52
	v_add_f16_e32 v46, v52, v48
	v_add_f16_e32 v41, v41, v48
	v_fma_f16 v47, v46, -0.5, v51
	v_sub_f16_e32 v48, v50, v55
	v_fma_f16 v46, v48, s4, v47
	v_fma_f16 v47, v48, s0, v47
	v_pack_b32_f16 v48, v9, v24
	v_pack_b32_f16 v49, v10, v42
	s_barrier
	ds_write2_b32 v43, v48, v49 offset1:9
	v_pack_b32_f16 v48, v13, v28
	ds_write_b32 v43, v48 offset:72
	v_pack_b32_f16 v43, v14, v27
	v_pack_b32_f16 v48, v11, v26
	ds_write2_b32 v44, v43, v48 offset1:9
	v_pack_b32_f16 v43, v12, v25
	ds_write_b32 v44, v43 offset:72
	v_pack_b32_f16 v43, v19, v41
	v_pack_b32_f16 v44, v20, v46
	ds_write2_b32 v45, v43, v44 offset1:9
	v_pack_b32_f16 v43, v17, v47
	ds_write_b32 v45, v43 offset:72
	s_waitcnt lgkmcnt(0)
	s_barrier
	s_and_saveexec_b64 s[0:1], vcc
	s_cbranch_execz .LBB0_7
; %bb.6:
	ds_read2_b32 v[9:10], v30 offset1:27
	ds_read2_b32 v[13:14], v30 offset0:54 offset1:81
	ds_read2_b32 v[11:12], v30 offset0:108 offset1:135
	;; [unrolled: 1-line block ×4, first 2 shown]
	ds_read_b32 v22, v30 offset:1080
	s_waitcnt lgkmcnt(5)
	v_lshrrev_b32_e32 v24, 16, v9
	v_lshrrev_b32_e32 v42, 16, v10
	s_waitcnt lgkmcnt(4)
	v_lshrrev_b32_e32 v28, 16, v13
	v_lshrrev_b32_e32 v27, 16, v14
	;; [unrolled: 3-line block ×5, first 2 shown]
	s_waitcnt lgkmcnt(0)
	v_lshrrev_b32_e32 v23, 16, v22
.LBB0_7:
	s_or_b64 exec, exec, s[0:1]
	s_and_saveexec_b64 s[0:1], vcc
	s_cbranch_execz .LBB0_9
; %bb.8:
	v_mul_f16_sdwa v43, v0, v42 dst_sel:DWORD dst_unused:UNUSED_PAD src0_sel:WORD_1 src1_sel:DWORD
	v_mul_f16_sdwa v44, v16, v23 dst_sel:DWORD dst_unused:UNUSED_PAD src0_sel:WORD_1 src1_sel:DWORD
	v_fma_f16 v43, v0, v10, v43
	v_fma_f16 v44, v16, v22, v44
	v_mul_f16_sdwa v22, v16, v22 dst_sel:DWORD dst_unused:UNUSED_PAD src0_sel:WORD_1 src1_sel:DWORD
	v_mul_f16_sdwa v10, v0, v10 dst_sel:DWORD dst_unused:UNUSED_PAD src0_sel:WORD_1 src1_sel:DWORD
	v_fma_f16 v16, v16, v23, -v22
	v_fma_f16 v0, v0, v42, -v10
	v_mul_f16_sdwa v23, v1, v28 dst_sel:DWORD dst_unused:UNUSED_PAD src0_sel:WORD_1 src1_sel:DWORD
	v_mul_f16_sdwa v42, v15, v21 dst_sel:DWORD dst_unused:UNUSED_PAD src0_sel:WORD_1 src1_sel:DWORD
	v_sub_f16_e32 v45, v43, v44
	v_fma_f16 v23, v1, v13, v23
	v_fma_f16 v42, v15, v18, v42
	v_mul_f16_sdwa v18, v15, v18 dst_sel:DWORD dst_unused:UNUSED_PAD src0_sel:WORD_1 src1_sel:DWORD
	v_mul_f16_sdwa v13, v1, v13 dst_sel:DWORD dst_unused:UNUSED_PAD src0_sel:WORD_1 src1_sel:DWORD
	v_mul_f16_e32 v48, 0xbbeb, v45
	v_add_f16_e32 v10, v16, v0
	s_mov_b32 s4, 0xb08e
	v_sub_f16_e32 v49, v23, v42
	v_fma_f16 v15, v15, v21, -v18
	v_fma_f16 v1, v1, v28, -v13
	v_fma_f16 v22, v10, s4, v48
	v_mul_f16_e32 v50, 0x3482, v49
	v_add_f16_e32 v13, v15, v1
	s_mov_b32 s6, 0xbbad
	v_add_f16_e32 v22, v24, v22
	v_fma_f16 v18, v13, s6, v50
	v_add_f16_e32 v18, v18, v22
	v_mul_f16_sdwa v21, v2, v27 dst_sel:DWORD dst_unused:UNUSED_PAD src0_sel:WORD_1 src1_sel:DWORD
	v_mul_f16_sdwa v22, v7, v47 dst_sel:DWORD dst_unused:UNUSED_PAD src0_sel:WORD_1 src1_sel:DWORD
	v_fma_f16 v21, v2, v14, v21
	v_fma_f16 v22, v7, v17, v22
	v_mul_f16_sdwa v17, v7, v17 dst_sel:DWORD dst_unused:UNUSED_PAD src0_sel:WORD_1 src1_sel:DWORD
	v_mul_f16_sdwa v14, v2, v14 dst_sel:DWORD dst_unused:UNUSED_PAD src0_sel:WORD_1 src1_sel:DWORD
	v_sub_f16_e32 v28, v21, v22
	v_fma_f16 v7, v7, v47, -v17
	v_fma_f16 v2, v2, v27, -v14
	v_mul_f16_e32 v51, 0x3b47, v28
	v_add_f16_e32 v14, v7, v2
	s_movk_i32 s7, 0x36a6
	v_fma_f16 v17, v14, s7, v51
	v_add_f16_e32 v17, v17, v18
	v_mul_f16_sdwa v18, v3, v26 dst_sel:DWORD dst_unused:UNUSED_PAD src0_sel:WORD_1 src1_sel:DWORD
	v_mul_f16_sdwa v27, v6, v46 dst_sel:DWORD dst_unused:UNUSED_PAD src0_sel:WORD_1 src1_sel:DWORD
	v_fma_f16 v18, v3, v11, v18
	v_fma_f16 v27, v6, v20, v27
	v_mul_f16_sdwa v20, v6, v20 dst_sel:DWORD dst_unused:UNUSED_PAD src0_sel:WORD_1 src1_sel:DWORD
	v_mul_f16_sdwa v11, v3, v11 dst_sel:DWORD dst_unused:UNUSED_PAD src0_sel:WORD_1 src1_sel:DWORD
	v_sub_f16_e32 v47, v18, v27
	v_fma_f16 v6, v6, v46, -v20
	v_fma_f16 v3, v3, v26, -v11
	v_mul_f16_e32 v52, 0xb853, v47
	v_add_f16_e32 v11, v6, v3
	s_movk_i32 s13, 0x3abb
	v_fma_f16 v20, v11, s13, v52
	v_add_f16_e32 v17, v20, v17
	v_mul_f16_sdwa v20, v4, v25 dst_sel:DWORD dst_unused:UNUSED_PAD src0_sel:WORD_1 src1_sel:DWORD
	v_mul_f16_sdwa v26, v5, v41 dst_sel:DWORD dst_unused:UNUSED_PAD src0_sel:WORD_1 src1_sel:DWORD
	v_fma_f16 v20, v4, v12, v20
	v_fma_f16 v26, v5, v19, v26
	v_mul_f16_sdwa v19, v5, v19 dst_sel:DWORD dst_unused:UNUSED_PAD src0_sel:WORD_1 src1_sel:DWORD
	v_mul_f16_sdwa v12, v4, v12 dst_sel:DWORD dst_unused:UNUSED_PAD src0_sel:WORD_1 src1_sel:DWORD
	v_sub_f16_e32 v46, v20, v26
	v_fma_f16 v5, v5, v41, -v19
	v_fma_f16 v4, v4, v25, -v12
	v_mul_f16_e32 v53, 0xba0c, v46
	v_add_f16_e32 v12, v5, v4
	s_mov_b32 s15, 0xb93d
	v_fma_f16 v19, v12, s15, v53
	v_sub_f16_e32 v25, v0, v16
	v_add_f16_e32 v17, v19, v17
	v_add_f16_e32 v19, v44, v43
	v_mul_f16_e32 v41, 0xbbeb, v25
	v_sub_f16_e32 v56, v1, v15
	v_fma_f16 v54, v19, s4, -v41
	v_add_f16_e32 v55, v42, v23
	v_mul_f16_e32 v57, 0x3482, v56
	v_add_f16_e32 v54, v9, v54
	v_fma_f16 v58, v55, s6, -v57
	v_sub_f16_e32 v59, v2, v7
	v_add_f16_e32 v54, v58, v54
	v_add_f16_e32 v58, v22, v21
	v_mul_f16_e32 v60, 0x3b47, v59
	v_fma_f16 v61, v58, s7, -v60
	v_sub_f16_e32 v62, v3, v6
	v_add_f16_e32 v54, v61, v54
	v_add_f16_e32 v61, v27, v18
	v_mul_f16_e32 v63, 0xb853, v62
	;; [unrolled: 5-line block ×3, first 2 shown]
	v_fma_f16 v67, v64, s15, -v66
	v_fma_f16 v48, v10, s4, -v48
	v_add_f16_e32 v54, v67, v54
	v_mul_f16_e32 v67, 0xba0c, v45
	v_add_f16_e32 v48, v24, v48
	v_fma_f16 v50, v13, s6, -v50
	v_fma_f16 v68, v10, s15, v67
	v_mul_f16_e32 v69, 0x3beb, v49
	v_add_f16_e32 v48, v50, v48
	v_fma_f16 v50, v14, s7, -v51
	v_add_f16_e32 v68, v24, v68
	v_fma_f16 v70, v13, s4, v69
	v_add_f16_e32 v48, v50, v48
	v_fma_f16 v50, v11, s13, -v52
	v_add_f16_e32 v68, v70, v68
	v_mul_f16_e32 v70, 0xb853, v28
	v_add_f16_e32 v48, v50, v48
	v_fma_f16 v50, v12, s15, -v53
	v_fma_f16 v41, v19, s4, v41
	v_fma_f16 v71, v14, s13, v70
	v_add_f16_e32 v48, v50, v48
	v_add_f16_e32 v41, v9, v41
	v_fma_f16 v50, v55, s6, v57
	v_add_f16_e32 v68, v71, v68
	v_mul_f16_e32 v71, 0xb482, v47
	v_add_f16_e32 v41, v50, v41
	v_fma_f16 v50, v58, s7, v60
	v_fma_f16 v72, v11, s6, v71
	v_add_f16_e32 v41, v50, v41
	v_fma_f16 v50, v61, s13, v63
	v_add_f16_e32 v68, v72, v68
	v_mul_f16_e32 v72, 0x3b47, v46
	v_add_f16_e32 v41, v50, v41
	v_fma_f16 v50, v64, s15, v66
	s_movk_i32 s17, 0x3b47
	v_fma_f16 v73, v12, s7, v72
	v_fma_f16 v67, v10, s15, -v67
	v_add_f16_e32 v41, v50, v41
	v_mul_f16_e32 v50, 0x36a6, v10
	v_add_f16_e32 v68, v73, v68
	v_mul_f16_e32 v73, 0xba0c, v25
	v_add_f16_e32 v67, v24, v67
	v_fma_f16 v69, v13, s4, -v69
	v_fma_f16 v51, v45, s17, v50
	v_mul_f16_e32 v52, 0xb93d, v13
	s_movk_i32 s21, 0x3a0c
	v_fma_f16 v74, v19, s15, -v73
	v_mul_f16_e32 v75, 0x3beb, v56
	v_add_f16_e32 v67, v69, v67
	v_fma_f16 v69, v14, s13, -v70
	v_add_f16_e32 v51, v24, v51
	v_fma_f16 v53, v49, s21, v52
	s_mov_b32 s18, 0xb482
	v_add_f16_e32 v74, v9, v74
	v_fma_f16 v76, v55, s4, -v75
	v_add_f16_e32 v67, v69, v67
	v_fma_f16 v69, v11, s6, -v71
	v_add_f16_e32 v51, v53, v51
	v_mul_f16_e32 v53, 0xbbad, v14
	v_add_f16_e32 v74, v76, v74
	v_mul_f16_e32 v76, 0xb853, v59
	v_add_f16_e32 v67, v69, v67
	v_fma_f16 v69, v12, s7, -v72
	v_fma_f16 v57, v28, s18, v53
	s_mov_b32 s5, 0xbbeb
	v_fma_f16 v77, v58, s13, -v76
	v_add_f16_e32 v67, v69, v67
	v_fma_f16 v69, v19, s15, v73
	v_add_f16_e32 v51, v57, v51
	v_mul_f16_e32 v57, 0xb08e, v11
	v_add_f16_e32 v74, v77, v74
	v_mul_f16_e32 v77, 0xb482, v62
	v_add_f16_e32 v69, v9, v69
	v_fma_f16 v70, v55, s4, v75
	v_fma_f16 v60, v47, s5, v57
	s_mov_b32 s14, 0xb853
	v_fma_f16 v78, v61, s6, -v77
	v_add_f16_e32 v69, v70, v69
	v_fma_f16 v70, v58, s13, v76
	v_add_f16_e32 v51, v60, v51
	v_mul_f16_e32 v60, 0x3abb, v12
	v_add_f16_e32 v74, v78, v74
	v_mul_f16_e32 v78, 0x3b47, v65
	v_add_f16_e32 v69, v70, v69
	v_fma_f16 v70, v61, s6, v77
	v_fma_f16 v63, v46, s14, v60
	s_mov_b32 s22, 0xbb47
	v_add_f16_e32 v0, v0, v24
	v_fma_f16 v79, v64, s7, -v78
	v_add_f16_e32 v69, v70, v69
	v_fma_f16 v70, v64, s7, v78
	v_add_f16_e32 v51, v63, v51
	v_mul_f16_e32 v63, 0xbb47, v25
	v_add_f16_e32 v0, v1, v0
	v_fma_f16 v1, v45, s22, v50
	s_movk_i32 s12, 0x3482
	v_add_f16_e32 v74, v79, v74
	v_mul_f16_e32 v79, 0xb482, v45
	v_add_f16_e32 v69, v70, v69
	v_fma_f16 v66, v19, s7, v63
	v_mul_f16_e32 v70, 0xba0c, v56
	v_add_f16_e32 v0, v2, v0
	v_add_f16_e32 v1, v24, v1
	v_fma_f16 v2, v49, s16, v52
	s_movk_i32 s19, 0x3beb
	v_fma_f16 v80, v10, s6, v79
	v_mul_f16_e32 v81, 0x3853, v49
	v_add_f16_e32 v66, v9, v66
	v_fma_f16 v71, v55, s15, v70
	v_add_f16_e32 v1, v2, v1
	v_fma_f16 v2, v28, s12, v53
	v_add_f16_e32 v80, v24, v80
	s_movk_i32 s20, 0x3853
	v_fma_f16 v82, v13, s13, v81
	v_add_f16_e32 v66, v71, v66
	v_mul_f16_e32 v71, 0x3482, v59
	v_add_f16_e32 v1, v2, v1
	v_fma_f16 v2, v47, s19, v57
	v_add_f16_e32 v80, v82, v80
	v_mul_f16_e32 v82, 0xba0c, v28
	v_fma_f16 v72, v58, s6, v71
	v_add_f16_e32 v1, v2, v1
	v_fma_f16 v2, v46, s20, v60
	v_fma_f16 v83, v14, s15, v82
	v_add_f16_e32 v66, v72, v66
	v_mul_f16_e32 v72, 0x3beb, v62
	v_add_f16_e32 v1, v2, v1
	v_fma_f16 v2, v19, s7, -v63
	v_add_f16_e32 v80, v83, v80
	v_mul_f16_e32 v83, 0x3b47, v47
	v_fma_f16 v73, v61, s4, v72
	v_add_f16_e32 v0, v3, v0
	v_add_f16_e32 v2, v9, v2
	v_fma_f16 v3, v55, s15, -v70
	v_fma_f16 v84, v11, s7, v83
	v_add_f16_e32 v66, v73, v66
	v_mul_f16_e32 v73, 0x3853, v65
	v_add_f16_e32 v2, v3, v2
	v_fma_f16 v3, v58, s6, -v71
	v_add_f16_e32 v80, v84, v80
	v_mul_f16_e32 v84, 0xbbeb, v46
	v_fma_f16 v79, v10, s6, -v79
	v_fma_f16 v75, v64, s13, v73
	v_mul_f16_e32 v10, 0x3abb, v10
	v_add_f16_e32 v2, v3, v2
	v_fma_f16 v3, v61, s4, -v72
	v_fma_f16 v85, v12, s4, v84
	v_add_f16_e32 v79, v24, v79
	v_fma_f16 v81, v13, s13, -v81
	v_add_f16_e32 v66, v75, v66
	v_fma_f16 v75, v45, s20, v10
	v_mul_f16_e32 v13, 0x36a6, v13
	v_add_f16_e32 v43, v9, v43
	v_add_f16_e32 v2, v3, v2
	v_fma_f16 v3, v64, s13, -v73
	v_add_f16_e32 v80, v85, v80
	v_mul_f16_e32 v85, 0xb482, v25
	v_add_f16_e32 v79, v81, v79
	v_fma_f16 v81, v14, s15, -v82
	v_add_f16_e32 v75, v24, v75
	v_fma_f16 v76, v49, s17, v13
	v_mul_f16_e32 v14, 0xb08e, v14
	v_add_f16_e32 v23, v23, v43
	v_add_f16_e32 v2, v3, v2
	v_fma_f16 v3, v45, s14, v10
	v_fma_f16 v86, v19, s6, -v85
	v_mul_f16_e32 v87, 0x3853, v56
	v_add_f16_e32 v79, v81, v79
	v_fma_f16 v81, v11, s7, -v83
	v_add_f16_e32 v75, v76, v75
	v_fma_f16 v76, v28, s19, v14
	v_mul_f16_e32 v11, 0xb93d, v11
	v_add_f16_e32 v21, v21, v23
	v_add_f16_e32 v0, v4, v0
	;; [unrolled: 1-line block ×3, first 2 shown]
	v_fma_f16 v4, v49, s22, v13
	v_add_f16_e32 v86, v9, v86
	v_fma_f16 v88, v55, s13, -v87
	v_add_f16_e32 v79, v81, v79
	v_fma_f16 v81, v12, s4, -v84
	v_add_f16_e32 v75, v76, v75
	v_fma_f16 v76, v47, s21, v11
	v_mul_f16_e32 v12, 0xbbad, v12
	v_add_f16_e32 v18, v18, v21
	v_add_f16_e32 v3, v4, v3
	v_fma_f16 v4, v28, s5, v14
	v_add_f16_e32 v86, v88, v86
	v_mul_f16_e32 v88, 0xba0c, v59
	v_add_f16_e32 v75, v76, v75
	v_fma_f16 v76, v46, s12, v12
	v_mul_f16_e32 v25, 0xb853, v25
	v_add_f16_e32 v18, v20, v18
	v_add_f16_e32 v3, v4, v3
	v_fma_f16 v4, v47, s16, v11
	v_fma_f16 v89, v58, s15, -v88
	v_add_f16_e32 v75, v76, v75
	v_fma_f16 v76, v19, s13, v25
	v_mul_f16_e32 v56, 0xbb47, v56
	v_add_f16_e32 v18, v26, v18
	v_add_f16_e32 v0, v5, v0
	;; [unrolled: 1-line block ×3, first 2 shown]
	v_fma_f16 v4, v46, s18, v12
	v_add_f16_e32 v86, v89, v86
	v_mul_f16_e32 v89, 0x3b47, v62
	v_add_f16_e32 v76, v9, v76
	v_fma_f16 v77, v55, s7, v56
	v_mul_f16_e32 v59, 0xbbeb, v59
	v_add_f16_e32 v18, v27, v18
	v_add_f16_e32 v0, v6, v0
	;; [unrolled: 1-line block ×3, first 2 shown]
	v_fma_f16 v4, v19, s13, -v25
	v_fma_f16 v90, v61, s7, -v89
	v_add_f16_e32 v79, v81, v79
	v_fma_f16 v81, v19, s6, v85
	v_add_f16_e32 v76, v77, v76
	v_fma_f16 v77, v58, s4, v59
	v_mul_f16_e32 v62, 0xba0c, v62
	v_add_f16_e32 v18, v22, v18
	v_add_f16_e32 v0, v7, v0
	v_add_f16_e32 v4, v9, v4
	v_fma_f16 v5, v55, s7, -v56
	v_add_f16_e32 v86, v90, v86
	v_mul_f16_e32 v90, 0xbbeb, v65
	v_add_f16_e32 v81, v9, v81
	v_fma_f16 v82, v55, s13, v87
	v_add_f16_e32 v76, v77, v76
	v_fma_f16 v77, v61, s15, v62
	v_mul_f16_e32 v65, 0xb482, v65
	v_add_f16_e32 v18, v42, v18
	v_add_f16_e32 v0, v15, v0
	;; [unrolled: 1-line block ×3, first 2 shown]
	v_fma_f16 v5, v58, s4, -v59
	v_add_f16_e32 v81, v82, v81
	v_fma_f16 v82, v58, s15, v88
	v_add_f16_e32 v76, v77, v76
	v_fma_f16 v77, v64, s6, v65
	v_add_f16_e32 v18, v44, v18
	v_add_f16_e32 v0, v16, v0
	;; [unrolled: 1-line block ×3, first 2 shown]
	v_fma_f16 v5, v61, s15, -v62
	v_add_f16_e32 v81, v82, v81
	v_fma_f16 v82, v61, s7, v89
	v_add_f16_e32 v76, v77, v76
	v_add_f16_e32 v4, v5, v4
	v_fma_f16 v5, v64, s6, -v65
	v_pack_b32_f16 v0, v18, v0
	v_fma_f16 v91, v64, s4, -v90
	v_add_f16_e32 v81, v82, v81
	v_fma_f16 v82, v64, s4, v90
	v_add_f16_e32 v4, v5, v4
	ds_write_b32 v30, v0
	v_lshl_add_u32 v0, v38, 2, v40
	v_pack_b32_f16 v5, v76, v75
	v_pack_b32_f16 v6, v66, v51
	v_add_f16_e32 v86, v91, v86
	v_add_f16_e32 v81, v82, v81
	ds_write2_b32 v0, v5, v6 offset0:27 offset1:54
	v_pack_b32_f16 v5, v41, v48
	v_pack_b32_f16 v6, v69, v67
	ds_write2_b32 v0, v5, v6 offset0:81 offset1:108
	v_pack_b32_f16 v5, v81, v79
	v_pack_b32_f16 v6, v86, v80
	;; [unrolled: 3-line block ×4, first 2 shown]
	v_add_u32_e32 v0, 0x200, v0
	ds_write2_b32 v0, v1, v2 offset0:115 offset1:142
.LBB0_9:
	s_or_b64 exec, exec, s[0:1]
	s_waitcnt lgkmcnt(0)
	s_barrier
	ds_read2_b32 v[0:1], v30 offset1:33
	s_mov_b32 s4, 0x2b18ff23
	s_mov_b32 s5, 0x3f6b951e
	v_mad_u64_u32 v[4:5], s[0:1], s10, v8, 0
	s_waitcnt lgkmcnt(0)
	v_lshrrev_b32_e32 v7, 16, v0
	v_mul_f16_sdwa v2, v39, v7 dst_sel:DWORD dst_unused:UNUSED_PAD src0_sel:WORD_1 src1_sel:DWORD
	v_fma_f16 v2, v39, v0, v2
	v_cvt_f32_f16_e32 v2, v2
	s_movk_i32 s6, 0x1ff
	v_mad_u64_u32 v[5:6], s[0:1], s11, v8, v[5:6]
	v_cvt_f64_f32_e32 v[2:3], v2
	s_movk_i32 s7, 0xffe
	v_mul_f16_sdwa v0, v39, v0 dst_sel:DWORD dst_unused:UNUSED_PAD src0_sel:WORD_1 src1_sel:DWORD
	v_fma_f16 v0, v39, v7, -v0
	v_mul_f64 v[2:3], v[2:3], s[4:5]
	v_cvt_f32_f16_e32 v7, v0
	v_mov_b32_e32 v0, 0x7c00
	s_movk_i32 s10, 0x40f
	s_mov_b32 s11, 0x8000
	v_lshrrev_b32_e32 v11, 16, v1
	v_and_or_b32 v2, v3, s6, v2
	v_cmp_ne_u32_e32 vcc, 0, v2
	v_lshrrev_b32_e32 v6, 8, v3
	v_bfe_u32 v8, v3, 20, 11
	v_cndmask_b32_e64 v2, 0, 1, vcc
	v_sub_u32_e32 v9, 0x3f1, v8
	v_and_or_b32 v2, v6, s7, v2
	v_or_b32_e32 v6, 0x1000, v2
	v_med3_i32 v9, v9, 0, 13
	v_lshrrev_b32_e32 v10, v9, v6
	v_lshlrev_b32_e32 v9, v9, v10
	v_cmp_ne_u32_e32 vcc, v9, v6
	v_cndmask_b32_e64 v6, 0, 1, vcc
	v_add_u32_e32 v8, 0xfffffc10, v8
	v_or_b32_e32 v6, v10, v6
	v_lshl_or_b32 v9, v8, 12, v2
	v_cmp_gt_i32_e32 vcc, 1, v8
	v_cndmask_b32_e32 v6, v9, v6, vcc
	v_and_b32_e32 v9, 7, v6
	v_cmp_lt_i32_e32 vcc, 5, v9
	v_cmp_eq_u32_e64 s[0:1], 3, v9
	v_lshrrev_b32_e32 v6, 2, v6
	s_or_b64 vcc, s[0:1], vcc
	v_addc_co_u32_e32 v9, vcc, 0, v6, vcc
	v_cvt_f64_f32_e32 v[6:7], v7
	v_cmp_gt_i32_e32 vcc, 31, v8
	v_cndmask_b32_e32 v9, v0, v9, vcc
	v_cmp_ne_u32_e32 vcc, 0, v2
	v_mul_f64 v[6:7], v[6:7], s[4:5]
	v_cndmask_b32_e64 v2, 0, 1, vcc
	v_lshl_or_b32 v2, v2, 9, v0
	v_cmp_eq_u32_e32 vcc, s10, v8
	v_cndmask_b32_e32 v2, v9, v2, vcc
	v_lshrrev_b32_e32 v3, 16, v3
	v_and_or_b32 v8, v3, s11, v2
	v_and_b32_e32 v8, 0xffff, v8
	v_and_or_b32 v2, v7, s6, v6
	v_cmp_ne_u32_e32 vcc, 0, v2
	v_cndmask_b32_e64 v2, 0, 1, vcc
	v_lshrrev_b32_e32 v3, 8, v7
	v_bfe_u32 v6, v7, 20, 11
	v_and_or_b32 v2, v3, s7, v2
	v_sub_u32_e32 v9, 0x3f1, v6
	v_or_b32_e32 v3, 0x1000, v2
	v_med3_i32 v9, v9, 0, 13
	v_lshrrev_b32_e32 v10, v9, v3
	v_lshlrev_b32_e32 v9, v9, v10
	v_cmp_ne_u32_e32 vcc, v9, v3
	v_cndmask_b32_e64 v3, 0, 1, vcc
	v_add_u32_e32 v6, 0xfffffc10, v6
	v_or_b32_e32 v3, v10, v3
	v_lshl_or_b32 v9, v6, 12, v2
	v_cmp_gt_i32_e32 vcc, 1, v6
	v_cndmask_b32_e32 v3, v9, v3, vcc
	v_and_b32_e32 v9, 7, v3
	v_cmp_lt_i32_e32 vcc, 5, v9
	v_cmp_eq_u32_e64 s[0:1], 3, v9
	v_lshrrev_b32_e32 v3, 2, v3
	s_or_b64 vcc, s[0:1], vcc
	v_addc_co_u32_e32 v3, vcc, 0, v3, vcc
	v_cmp_gt_i32_e32 vcc, 31, v6
	v_cndmask_b32_e32 v9, v0, v3, vcc
	v_cmp_ne_u32_e32 vcc, 0, v2
	v_cndmask_b32_e64 v2, 0, 1, vcc
	v_lshl_or_b32 v10, v2, 9, v0
	v_mad_u64_u32 v[2:3], s[0:1], s8, v38, 0
	v_cmp_eq_u32_e32 vcc, s10, v6
	v_cndmask_b32_e32 v9, v9, v10, vcc
	v_lshrrev_b32_e32 v10, 16, v7
	v_mad_u64_u32 v[6:7], s[0:1], s9, v38, v[3:4]
	v_mul_f16_sdwa v3, v37, v11 dst_sel:DWORD dst_unused:UNUSED_PAD src0_sel:WORD_1 src1_sel:DWORD
	v_fma_f16 v3, v37, v1, v3
	v_cvt_f32_f16_e32 v7, v3
	v_mov_b32_e32 v3, v6
	v_lshlrev_b64 v[4:5], 2, v[4:5]
	v_and_or_b32 v9, v10, s11, v9
	v_cvt_f64_f32_e32 v[6:7], v7
	v_lshl_or_b32 v8, v9, 16, v8
	v_mov_b32_e32 v9, s3
	v_add_co_u32_e32 v4, vcc, s2, v4
	v_mul_f64 v[6:7], v[6:7], s[4:5]
	v_lshlrev_b64 v[2:3], 2, v[2:3]
	v_addc_co_u32_e32 v5, vcc, v9, v5, vcc
	v_add_co_u32_e32 v2, vcc, v4, v2
	v_addc_co_u32_e32 v3, vcc, v5, v3, vcc
	v_and_or_b32 v4, v7, s6, v6
	v_cmp_ne_u32_e32 vcc, 0, v4
	v_cndmask_b32_e64 v4, 0, 1, vcc
	v_lshrrev_b32_e32 v5, 8, v7
	v_and_or_b32 v6, v5, s7, v4
	v_bfe_u32 v5, v7, 20, 11
	global_store_dword v[2:3], v8, off
	v_sub_u32_e32 v8, 0x3f1, v5
	v_or_b32_e32 v4, 0x1000, v6
	v_med3_i32 v8, v8, 0, 13
	v_lshrrev_b32_e32 v9, v8, v4
	v_lshlrev_b32_e32 v8, v8, v9
	v_mul_f16_sdwa v1, v37, v1 dst_sel:DWORD dst_unused:UNUSED_PAD src0_sel:WORD_1 src1_sel:DWORD
	v_cmp_ne_u32_e32 vcc, v8, v4
	v_fma_f16 v1, v37, v11, -v1
	v_cndmask_b32_e64 v4, 0, 1, vcc
	v_add_u32_e32 v8, 0xfffffc10, v5
	v_cvt_f32_f16_e32 v1, v1
	v_or_b32_e32 v4, v9, v4
	v_lshl_or_b32 v5, v8, 12, v6
	v_cmp_gt_i32_e32 vcc, 1, v8
	v_cndmask_b32_e32 v4, v5, v4, vcc
	v_and_b32_e32 v5, 7, v4
	v_cmp_lt_i32_e32 vcc, 5, v5
	v_cmp_eq_u32_e64 s[0:1], 3, v5
	v_lshrrev_b32_e32 v9, 2, v4
	v_cvt_f64_f32_e32 v[4:5], v1
	s_or_b64 vcc, s[0:1], vcc
	v_addc_co_u32_e32 v1, vcc, 0, v9, vcc
	v_mul_f64 v[4:5], v[4:5], s[4:5]
	v_cmp_gt_i32_e32 vcc, 31, v8
	v_cndmask_b32_e32 v1, v0, v1, vcc
	v_cmp_ne_u32_e32 vcc, 0, v6
	v_cndmask_b32_e64 v6, 0, 1, vcc
	v_lshl_or_b32 v6, v6, 9, v0
	v_cmp_eq_u32_e32 vcc, s10, v8
	v_cndmask_b32_e32 v1, v1, v6, vcc
	v_and_or_b32 v4, v5, s6, v4
	v_lshrrev_b32_e32 v6, 16, v7
	v_cmp_ne_u32_e32 vcc, 0, v4
	v_and_or_b32 v1, v6, s11, v1
	v_cndmask_b32_e64 v4, 0, 1, vcc
	v_lshrrev_b32_e32 v6, 8, v5
	v_bfe_u32 v7, v5, 20, 11
	v_and_or_b32 v4, v6, s7, v4
	v_sub_u32_e32 v8, 0x3f1, v7
	v_or_b32_e32 v6, 0x1000, v4
	v_med3_i32 v8, v8, 0, 13
	v_lshrrev_b32_e32 v9, v8, v6
	v_lshlrev_b32_e32 v8, v8, v9
	v_cmp_ne_u32_e32 vcc, v8, v6
	v_cndmask_b32_e64 v6, 0, 1, vcc
	v_add_u32_e32 v8, 0xfffffc10, v7
	v_or_b32_e32 v6, v9, v6
	v_lshl_or_b32 v7, v8, 12, v4
	v_cmp_gt_i32_e32 vcc, 1, v8
	v_cndmask_b32_e32 v6, v7, v6, vcc
	v_and_b32_e32 v7, 7, v6
	v_cmp_lt_i32_e32 vcc, 5, v7
	v_cmp_eq_u32_e64 s[0:1], 3, v7
	v_lshrrev_b32_e32 v6, 2, v6
	s_or_b64 vcc, s[0:1], vcc
	v_addc_co_u32_e32 v6, vcc, 0, v6, vcc
	v_cmp_gt_i32_e32 vcc, 31, v8
	v_cndmask_b32_e32 v9, v0, v6, vcc
	ds_read2_b32 v[6:7], v30 offset0:66 offset1:99
	v_cmp_ne_u32_e32 vcc, 0, v4
	v_cndmask_b32_e64 v4, 0, 1, vcc
	v_lshl_or_b32 v4, v4, 9, v0
	v_cmp_eq_u32_e32 vcc, s10, v8
	s_waitcnt lgkmcnt(0)
	v_lshrrev_b32_e32 v8, 16, v6
	v_cndmask_b32_e32 v4, v9, v4, vcc
	v_mul_f16_sdwa v9, v36, v8 dst_sel:DWORD dst_unused:UNUSED_PAD src0_sel:WORD_1 src1_sel:DWORD
	v_fma_f16 v9, v36, v6, v9
	v_cvt_f32_f16_e32 v9, v9
	v_lshrrev_b32_e32 v5, 16, v5
	v_and_or_b32 v4, v5, s11, v4
	v_and_b32_e32 v1, 0xffff, v1
	v_lshl_or_b32 v10, v4, 16, v1
	v_cvt_f64_f32_e32 v[4:5], v9
	s_mul_i32 s0, s9, 0x84
	s_mul_hi_u32 s2, s8, 0x84
	s_add_i32 s2, s2, s0
	v_mul_f64 v[4:5], v[4:5], s[4:5]
	s_mul_i32 s3, s8, 0x84
	v_mov_b32_e32 v9, s2
	v_add_co_u32_e32 v1, vcc, s3, v2
	v_addc_co_u32_e32 v2, vcc, v3, v9, vcc
	global_store_dword v[1:2], v10, off
	v_and_or_b32 v3, v5, s6, v4
	v_cmp_ne_u32_e32 vcc, 0, v3
	v_cndmask_b32_e64 v3, 0, 1, vcc
	v_lshrrev_b32_e32 v4, 8, v5
	v_and_or_b32 v9, v4, s7, v3
	v_bfe_u32 v4, v5, 20, 11
	v_sub_u32_e32 v10, 0x3f1, v4
	v_or_b32_e32 v3, 0x1000, v9
	v_med3_i32 v10, v10, 0, 13
	v_lshrrev_b32_e32 v11, v10, v3
	v_lshlrev_b32_e32 v10, v10, v11
	v_mul_f16_sdwa v6, v36, v6 dst_sel:DWORD dst_unused:UNUSED_PAD src0_sel:WORD_1 src1_sel:DWORD
	v_cmp_ne_u32_e32 vcc, v10, v3
	v_fma_f16 v6, v36, v8, -v6
	v_cndmask_b32_e64 v3, 0, 1, vcc
	v_add_u32_e32 v10, 0xfffffc10, v4
	v_cvt_f32_f16_e32 v6, v6
	v_or_b32_e32 v3, v11, v3
	v_lshl_or_b32 v4, v10, 12, v9
	v_cmp_gt_i32_e32 vcc, 1, v10
	v_cndmask_b32_e32 v3, v4, v3, vcc
	v_and_b32_e32 v4, 7, v3
	v_cmp_lt_i32_e32 vcc, 5, v4
	v_cmp_eq_u32_e64 s[0:1], 3, v4
	v_lshrrev_b32_e32 v8, 2, v3
	v_cvt_f64_f32_e32 v[3:4], v6
	s_or_b64 vcc, s[0:1], vcc
	v_addc_co_u32_e32 v6, vcc, 0, v8, vcc
	v_mul_f64 v[3:4], v[3:4], s[4:5]
	v_cmp_gt_i32_e32 vcc, 31, v10
	v_cndmask_b32_e32 v6, v0, v6, vcc
	v_cmp_ne_u32_e32 vcc, 0, v9
	v_cndmask_b32_e64 v8, 0, 1, vcc
	v_lshl_or_b32 v8, v8, 9, v0
	v_cmp_eq_u32_e32 vcc, s10, v10
	v_cndmask_b32_e32 v6, v6, v8, vcc
	v_and_or_b32 v3, v4, s6, v3
	v_lshrrev_b32_e32 v5, 16, v5
	v_cmp_ne_u32_e32 vcc, 0, v3
	v_and_or_b32 v8, v5, s11, v6
	v_cndmask_b32_e64 v3, 0, 1, vcc
	v_lshrrev_b32_e32 v5, 8, v4
	v_bfe_u32 v6, v4, 20, 11
	v_and_or_b32 v3, v5, s7, v3
	v_sub_u32_e32 v9, 0x3f1, v6
	v_or_b32_e32 v5, 0x1000, v3
	v_med3_i32 v9, v9, 0, 13
	v_lshrrev_b32_e32 v10, v9, v5
	v_lshlrev_b32_e32 v9, v9, v10
	v_cmp_ne_u32_e32 vcc, v9, v5
	v_cndmask_b32_e64 v5, 0, 1, vcc
	v_add_u32_e32 v6, 0xfffffc10, v6
	v_or_b32_e32 v5, v10, v5
	v_lshl_or_b32 v9, v6, 12, v3
	v_cmp_gt_i32_e32 vcc, 1, v6
	v_cndmask_b32_e32 v5, v9, v5, vcc
	v_and_b32_e32 v9, 7, v5
	v_cmp_lt_i32_e32 vcc, 5, v9
	v_cmp_eq_u32_e64 s[0:1], 3, v9
	v_lshrrev_b32_e32 v9, 16, v7
	v_lshrrev_b32_e32 v5, 2, v5
	s_or_b64 vcc, s[0:1], vcc
	v_mul_f16_sdwa v10, v35, v9 dst_sel:DWORD dst_unused:UNUSED_PAD src0_sel:WORD_1 src1_sel:DWORD
	v_addc_co_u32_e32 v5, vcc, 0, v5, vcc
	v_fma_f16 v10, v35, v7, v10
	v_cmp_gt_i32_e32 vcc, 31, v6
	v_cvt_f32_f16_e32 v10, v10
	v_cndmask_b32_e32 v5, v0, v5, vcc
	v_cmp_ne_u32_e32 vcc, 0, v3
	v_cndmask_b32_e64 v3, 0, 1, vcc
	v_lshl_or_b32 v3, v3, 9, v0
	v_cmp_eq_u32_e32 vcc, s10, v6
	v_cndmask_b32_e32 v3, v5, v3, vcc
	v_cvt_f64_f32_e32 v[5:6], v10
	v_lshrrev_b32_e32 v4, 16, v4
	v_and_or_b32 v10, v4, s11, v3
	v_add_co_u32_e32 v1, vcc, s3, v1
	v_mul_f64 v[3:4], v[5:6], s[4:5]
	v_mov_b32_e32 v6, s2
	v_and_b32_e32 v8, 0xffff, v8
	v_addc_co_u32_e32 v2, vcc, v2, v6, vcc
	v_lshl_or_b32 v5, v10, 16, v8
	global_store_dword v[1:2], v5, off
	v_mul_f16_sdwa v7, v35, v7 dst_sel:DWORD dst_unused:UNUSED_PAD src0_sel:WORD_1 src1_sel:DWORD
	v_and_or_b32 v3, v4, s6, v3
	v_cmp_ne_u32_e32 vcc, 0, v3
	v_cndmask_b32_e64 v3, 0, 1, vcc
	v_lshrrev_b32_e32 v5, 8, v4
	v_bfe_u32 v6, v4, 20, 11
	v_and_or_b32 v3, v5, s7, v3
	v_sub_u32_e32 v8, 0x3f1, v6
	v_or_b32_e32 v5, 0x1000, v3
	v_med3_i32 v8, v8, 0, 13
	v_lshrrev_b32_e32 v10, v8, v5
	v_lshlrev_b32_e32 v8, v8, v10
	v_cmp_ne_u32_e32 vcc, v8, v5
	v_fma_f16 v7, v35, v9, -v7
	v_cndmask_b32_e64 v5, 0, 1, vcc
	v_add_u32_e32 v8, 0xfffffc10, v6
	v_cvt_f32_f16_e32 v7, v7
	v_or_b32_e32 v5, v10, v5
	v_lshl_or_b32 v6, v8, 12, v3
	v_cmp_gt_i32_e32 vcc, 1, v8
	v_cndmask_b32_e32 v5, v6, v5, vcc
	v_and_b32_e32 v6, 7, v5
	v_cmp_lt_i32_e32 vcc, 5, v6
	v_cmp_eq_u32_e64 s[0:1], 3, v6
	v_lshrrev_b32_e32 v9, 2, v5
	v_cvt_f64_f32_e32 v[5:6], v7
	s_or_b64 vcc, s[0:1], vcc
	v_addc_co_u32_e32 v7, vcc, 0, v9, vcc
	v_mul_f64 v[5:6], v[5:6], s[4:5]
	v_cmp_gt_i32_e32 vcc, 31, v8
	v_cndmask_b32_e32 v7, v0, v7, vcc
	v_cmp_ne_u32_e32 vcc, 0, v3
	v_cndmask_b32_e64 v3, 0, 1, vcc
	v_lshl_or_b32 v3, v3, 9, v0
	v_cmp_eq_u32_e32 vcc, s10, v8
	v_cndmask_b32_e32 v3, v7, v3, vcc
	v_lshrrev_b32_e32 v4, 16, v4
	v_and_or_b32 v9, v4, s11, v3
	v_and_or_b32 v3, v6, s6, v5
	v_cmp_ne_u32_e32 vcc, 0, v3
	v_cndmask_b32_e64 v3, 0, 1, vcc
	v_lshrrev_b32_e32 v4, 8, v6
	v_and_or_b32 v5, v4, s7, v3
	v_bfe_u32 v4, v6, 20, 11
	v_sub_u32_e32 v7, 0x3f1, v4
	v_or_b32_e32 v3, 0x1000, v5
	v_med3_i32 v7, v7, 0, 13
	v_lshrrev_b32_e32 v8, v7, v3
	v_lshlrev_b32_e32 v7, v7, v8
	v_cmp_ne_u32_e32 vcc, v7, v3
	v_cndmask_b32_e64 v3, 0, 1, vcc
	v_add_u32_e32 v7, 0xfffffc10, v4
	v_or_b32_e32 v3, v8, v3
	v_lshl_or_b32 v4, v7, 12, v5
	v_cmp_gt_i32_e32 vcc, 1, v7
	v_cndmask_b32_e32 v3, v4, v3, vcc
	v_and_b32_e32 v4, 7, v3
	v_cmp_lt_i32_e32 vcc, 5, v4
	v_cmp_eq_u32_e64 s[0:1], 3, v4
	v_lshrrev_b32_e32 v3, 2, v3
	s_or_b64 vcc, s[0:1], vcc
	v_addc_co_u32_e32 v8, vcc, 0, v3, vcc
	ds_read2_b32 v[3:4], v30 offset0:132 offset1:165
	v_cmp_gt_i32_e32 vcc, 31, v7
	v_cndmask_b32_e32 v8, v0, v8, vcc
	v_cmp_ne_u32_e32 vcc, 0, v5
	v_cndmask_b32_e64 v5, 0, 1, vcc
	s_waitcnt lgkmcnt(0)
	v_lshrrev_b32_e32 v10, 16, v3
	v_mul_f16_sdwa v11, v34, v10 dst_sel:DWORD dst_unused:UNUSED_PAD src0_sel:WORD_1 src1_sel:DWORD
	v_fma_f16 v11, v34, v3, v11
	v_cvt_f32_f16_e32 v11, v11
	v_lshl_or_b32 v5, v5, 9, v0
	v_cmp_eq_u32_e32 vcc, s10, v7
	v_cndmask_b32_e32 v5, v8, v5, vcc
	v_cvt_f64_f32_e32 v[7:8], v11
	v_lshrrev_b32_e32 v6, 16, v6
	v_and_or_b32 v11, v6, s11, v5
	v_add_co_u32_e32 v1, vcc, s3, v1
	v_mul_f64 v[5:6], v[7:8], s[4:5]
	v_mov_b32_e32 v8, s2
	v_and_b32_e32 v9, 0xffff, v9
	v_addc_co_u32_e32 v2, vcc, v2, v8, vcc
	v_lshl_or_b32 v7, v11, 16, v9
	global_store_dword v[1:2], v7, off
	v_mul_f16_sdwa v3, v34, v3 dst_sel:DWORD dst_unused:UNUSED_PAD src0_sel:WORD_1 src1_sel:DWORD
	v_and_or_b32 v5, v6, s6, v5
	v_cmp_ne_u32_e32 vcc, 0, v5
	v_cndmask_b32_e64 v5, 0, 1, vcc
	v_lshrrev_b32_e32 v7, 8, v6
	v_bfe_u32 v8, v6, 20, 11
	v_and_or_b32 v5, v7, s7, v5
	v_sub_u32_e32 v9, 0x3f1, v8
	v_or_b32_e32 v7, 0x1000, v5
	v_med3_i32 v9, v9, 0, 13
	v_lshrrev_b32_e32 v11, v9, v7
	v_lshlrev_b32_e32 v9, v9, v11
	v_cmp_ne_u32_e32 vcc, v9, v7
	v_fma_f16 v3, v34, v10, -v3
	v_cndmask_b32_e64 v7, 0, 1, vcc
	v_add_u32_e32 v9, 0xfffffc10, v8
	v_cvt_f32_f16_e32 v3, v3
	v_or_b32_e32 v7, v11, v7
	v_lshl_or_b32 v8, v9, 12, v5
	v_cmp_gt_i32_e32 vcc, 1, v9
	v_cndmask_b32_e32 v7, v8, v7, vcc
	v_and_b32_e32 v8, 7, v7
	v_cmp_lt_i32_e32 vcc, 5, v8
	v_cmp_eq_u32_e64 s[0:1], 3, v8
	v_lshrrev_b32_e32 v10, 2, v7
	v_cvt_f64_f32_e32 v[7:8], v3
	s_or_b64 vcc, s[0:1], vcc
	v_addc_co_u32_e32 v3, vcc, 0, v10, vcc
	v_mul_f64 v[7:8], v[7:8], s[4:5]
	v_cmp_gt_i32_e32 vcc, 31, v9
	v_cndmask_b32_e32 v3, v0, v3, vcc
	v_cmp_ne_u32_e32 vcc, 0, v5
	v_cndmask_b32_e64 v5, 0, 1, vcc
	v_lshl_or_b32 v5, v5, 9, v0
	v_cmp_eq_u32_e32 vcc, s10, v9
	v_cndmask_b32_e32 v3, v3, v5, vcc
	v_lshrrev_b32_e32 v5, 16, v6
	v_and_or_b32 v3, v5, s11, v3
	v_and_or_b32 v5, v8, s6, v7
	v_cmp_ne_u32_e32 vcc, 0, v5
	v_cndmask_b32_e64 v5, 0, 1, vcc
	v_lshrrev_b32_e32 v6, 8, v8
	v_bfe_u32 v7, v8, 20, 11
	v_and_or_b32 v5, v6, s7, v5
	v_sub_u32_e32 v9, 0x3f1, v7
	v_or_b32_e32 v6, 0x1000, v5
	v_med3_i32 v9, v9, 0, 13
	v_lshrrev_b32_e32 v10, v9, v6
	v_lshlrev_b32_e32 v9, v9, v10
	v_cmp_ne_u32_e32 vcc, v9, v6
	v_cndmask_b32_e64 v6, 0, 1, vcc
	v_add_u32_e32 v7, 0xfffffc10, v7
	v_or_b32_e32 v6, v10, v6
	v_lshl_or_b32 v9, v7, 12, v5
	v_cmp_gt_i32_e32 vcc, 1, v7
	v_cndmask_b32_e32 v6, v9, v6, vcc
	v_and_b32_e32 v9, 7, v6
	v_cmp_lt_i32_e32 vcc, 5, v9
	v_cmp_eq_u32_e64 s[0:1], 3, v9
	v_lshrrev_b32_e32 v9, 16, v4
	v_lshrrev_b32_e32 v6, 2, v6
	s_or_b64 vcc, s[0:1], vcc
	v_mul_f16_sdwa v10, v33, v9 dst_sel:DWORD dst_unused:UNUSED_PAD src0_sel:WORD_1 src1_sel:DWORD
	v_addc_co_u32_e32 v6, vcc, 0, v6, vcc
	v_fma_f16 v10, v33, v4, v10
	v_cmp_gt_i32_e32 vcc, 31, v7
	v_cvt_f32_f16_e32 v10, v10
	v_cndmask_b32_e32 v6, v0, v6, vcc
	v_cmp_ne_u32_e32 vcc, 0, v5
	v_cndmask_b32_e64 v5, 0, 1, vcc
	v_lshl_or_b32 v5, v5, 9, v0
	v_cmp_eq_u32_e32 vcc, s10, v7
	v_cndmask_b32_e32 v7, v6, v5, vcc
	v_cvt_f64_f32_e32 v[5:6], v10
	v_lshrrev_b32_e32 v8, 16, v8
	v_and_or_b32 v7, v8, s11, v7
	v_and_b32_e32 v3, 0xffff, v3
	v_mul_f64 v[5:6], v[5:6], s[4:5]
	v_lshl_or_b32 v3, v7, 16, v3
	v_mov_b32_e32 v7, s2
	v_add_co_u32_e32 v1, vcc, s3, v1
	v_addc_co_u32_e32 v2, vcc, v2, v7, vcc
	global_store_dword v[1:2], v3, off
	v_and_or_b32 v3, v6, s6, v5
	v_cmp_ne_u32_e32 vcc, 0, v3
	v_cndmask_b32_e64 v3, 0, 1, vcc
	v_lshrrev_b32_e32 v5, 8, v6
	v_bfe_u32 v7, v6, 20, 11
	v_and_or_b32 v5, v5, s7, v3
	v_sub_u32_e32 v8, 0x3f1, v7
	v_or_b32_e32 v3, 0x1000, v5
	v_med3_i32 v8, v8, 0, 13
	v_lshrrev_b32_e32 v10, v8, v3
	v_lshlrev_b32_e32 v8, v8, v10
	v_mul_f16_sdwa v4, v33, v4 dst_sel:DWORD dst_unused:UNUSED_PAD src0_sel:WORD_1 src1_sel:DWORD
	v_cmp_ne_u32_e32 vcc, v8, v3
	v_fma_f16 v4, v33, v9, -v4
	v_cndmask_b32_e64 v3, 0, 1, vcc
	v_add_u32_e32 v7, 0xfffffc10, v7
	v_cvt_f32_f16_e32 v4, v4
	v_or_b32_e32 v3, v10, v3
	v_lshl_or_b32 v8, v7, 12, v5
	v_cmp_gt_i32_e32 vcc, 1, v7
	v_cndmask_b32_e32 v3, v8, v3, vcc
	v_and_b32_e32 v8, 7, v3
	v_cmp_lt_i32_e32 vcc, 5, v8
	v_cmp_eq_u32_e64 s[0:1], 3, v8
	v_lshrrev_b32_e32 v8, 2, v3
	v_cvt_f64_f32_e32 v[3:4], v4
	s_or_b64 vcc, s[0:1], vcc
	v_addc_co_u32_e32 v8, vcc, 0, v8, vcc
	v_mul_f64 v[3:4], v[3:4], s[4:5]
	v_cmp_gt_i32_e32 vcc, 31, v7
	v_cndmask_b32_e32 v8, v0, v8, vcc
	v_cmp_ne_u32_e32 vcc, 0, v5
	v_cndmask_b32_e64 v5, 0, 1, vcc
	v_lshl_or_b32 v5, v5, 9, v0
	v_cmp_eq_u32_e32 vcc, s10, v7
	v_cndmask_b32_e32 v5, v8, v5, vcc
	v_and_or_b32 v3, v4, s6, v3
	v_lshrrev_b32_e32 v6, 16, v6
	v_cmp_ne_u32_e32 vcc, 0, v3
	v_and_or_b32 v9, v6, s11, v5
	v_cndmask_b32_e64 v3, 0, 1, vcc
	v_lshrrev_b32_e32 v5, 8, v4
	v_bfe_u32 v6, v4, 20, 11
	v_and_or_b32 v3, v5, s7, v3
	v_sub_u32_e32 v7, 0x3f1, v6
	v_or_b32_e32 v5, 0x1000, v3
	v_med3_i32 v7, v7, 0, 13
	v_lshrrev_b32_e32 v8, v7, v5
	v_lshlrev_b32_e32 v7, v7, v8
	v_cmp_ne_u32_e32 vcc, v7, v5
	v_cndmask_b32_e64 v5, 0, 1, vcc
	v_add_u32_e32 v7, 0xfffffc10, v6
	v_or_b32_e32 v5, v8, v5
	v_lshl_or_b32 v6, v7, 12, v3
	v_cmp_gt_i32_e32 vcc, 1, v7
	v_cndmask_b32_e32 v5, v6, v5, vcc
	v_and_b32_e32 v6, 7, v5
	v_cmp_lt_i32_e32 vcc, 5, v6
	v_cmp_eq_u32_e64 s[0:1], 3, v6
	v_lshrrev_b32_e32 v5, 2, v5
	s_or_b64 vcc, s[0:1], vcc
	v_addc_co_u32_e32 v8, vcc, 0, v5, vcc
	ds_read2_b32 v[5:6], v30 offset0:198 offset1:231
	v_cmp_gt_i32_e32 vcc, 31, v7
	v_cndmask_b32_e32 v8, v0, v8, vcc
	v_cmp_ne_u32_e32 vcc, 0, v3
	v_cndmask_b32_e64 v3, 0, 1, vcc
	s_waitcnt lgkmcnt(0)
	v_lshrrev_b32_e32 v10, 16, v5
	v_mul_f16_sdwa v11, v32, v10 dst_sel:DWORD dst_unused:UNUSED_PAD src0_sel:WORD_1 src1_sel:DWORD
	v_fma_f16 v11, v32, v5, v11
	v_cvt_f32_f16_e32 v11, v11
	v_lshl_or_b32 v3, v3, 9, v0
	v_cmp_eq_u32_e32 vcc, s10, v7
	v_cndmask_b32_e32 v3, v8, v3, vcc
	v_cvt_f64_f32_e32 v[7:8], v11
	v_lshrrev_b32_e32 v4, 16, v4
	v_and_or_b32 v11, v4, s11, v3
	v_add_co_u32_e32 v1, vcc, s3, v1
	v_mul_f64 v[3:4], v[7:8], s[4:5]
	v_mov_b32_e32 v8, s2
	v_and_b32_e32 v9, 0xffff, v9
	v_addc_co_u32_e32 v2, vcc, v2, v8, vcc
	v_lshl_or_b32 v7, v11, 16, v9
	global_store_dword v[1:2], v7, off
	v_mul_f16_sdwa v5, v32, v5 dst_sel:DWORD dst_unused:UNUSED_PAD src0_sel:WORD_1 src1_sel:DWORD
	v_and_or_b32 v3, v4, s6, v3
	v_cmp_ne_u32_e32 vcc, 0, v3
	v_cndmask_b32_e64 v3, 0, 1, vcc
	v_lshrrev_b32_e32 v7, 8, v4
	v_bfe_u32 v8, v4, 20, 11
	v_and_or_b32 v3, v7, s7, v3
	v_sub_u32_e32 v9, 0x3f1, v8
	v_or_b32_e32 v7, 0x1000, v3
	v_med3_i32 v9, v9, 0, 13
	v_lshrrev_b32_e32 v11, v9, v7
	v_lshlrev_b32_e32 v9, v9, v11
	v_cmp_ne_u32_e32 vcc, v9, v7
	v_fma_f16 v5, v32, v10, -v5
	v_cndmask_b32_e64 v7, 0, 1, vcc
	v_add_u32_e32 v9, 0xfffffc10, v8
	v_cvt_f32_f16_e32 v5, v5
	v_or_b32_e32 v7, v11, v7
	v_lshl_or_b32 v8, v9, 12, v3
	v_cmp_gt_i32_e32 vcc, 1, v9
	v_cndmask_b32_e32 v7, v8, v7, vcc
	v_and_b32_e32 v8, 7, v7
	v_cmp_lt_i32_e32 vcc, 5, v8
	v_cmp_eq_u32_e64 s[0:1], 3, v8
	v_lshrrev_b32_e32 v10, 2, v7
	v_cvt_f64_f32_e32 v[7:8], v5
	s_or_b64 vcc, s[0:1], vcc
	v_addc_co_u32_e32 v5, vcc, 0, v10, vcc
	v_mul_f64 v[7:8], v[7:8], s[4:5]
	v_cmp_gt_i32_e32 vcc, 31, v9
	v_cndmask_b32_e32 v5, v0, v5, vcc
	v_cmp_ne_u32_e32 vcc, 0, v3
	v_cndmask_b32_e64 v3, 0, 1, vcc
	v_lshl_or_b32 v3, v3, 9, v0
	v_cmp_eq_u32_e32 vcc, s10, v9
	v_cndmask_b32_e32 v3, v5, v3, vcc
	v_lshrrev_b32_e32 v4, 16, v4
	v_and_or_b32 v5, v4, s11, v3
	v_and_or_b32 v3, v8, s6, v7
	v_cmp_ne_u32_e32 vcc, 0, v3
	v_cndmask_b32_e64 v3, 0, 1, vcc
	v_lshrrev_b32_e32 v4, 8, v8
	v_bfe_u32 v7, v8, 20, 11
	v_and_or_b32 v3, v4, s7, v3
	v_sub_u32_e32 v9, 0x3f1, v7
	v_or_b32_e32 v4, 0x1000, v3
	v_med3_i32 v9, v9, 0, 13
	v_lshrrev_b32_e32 v10, v9, v4
	v_lshlrev_b32_e32 v9, v9, v10
	v_cmp_ne_u32_e32 vcc, v9, v4
	v_cndmask_b32_e64 v4, 0, 1, vcc
	v_add_u32_e32 v7, 0xfffffc10, v7
	v_or_b32_e32 v4, v10, v4
	v_lshl_or_b32 v9, v7, 12, v3
	v_cmp_gt_i32_e32 vcc, 1, v7
	v_cndmask_b32_e32 v4, v9, v4, vcc
	v_and_b32_e32 v9, 7, v4
	v_cmp_lt_i32_e32 vcc, 5, v9
	v_cmp_eq_u32_e64 s[0:1], 3, v9
	v_lshrrev_b32_e32 v9, 16, v6
	v_lshrrev_b32_e32 v4, 2, v4
	s_or_b64 vcc, s[0:1], vcc
	v_mul_f16_sdwa v10, v31, v9 dst_sel:DWORD dst_unused:UNUSED_PAD src0_sel:WORD_1 src1_sel:DWORD
	v_addc_co_u32_e32 v4, vcc, 0, v4, vcc
	v_fma_f16 v10, v31, v6, v10
	v_cmp_gt_i32_e32 vcc, 31, v7
	v_cvt_f32_f16_e32 v10, v10
	v_cndmask_b32_e32 v4, v0, v4, vcc
	v_cmp_ne_u32_e32 vcc, 0, v3
	v_cndmask_b32_e64 v3, 0, 1, vcc
	v_lshl_or_b32 v3, v3, 9, v0
	v_cmp_eq_u32_e32 vcc, s10, v7
	v_cndmask_b32_e32 v7, v4, v3, vcc
	v_cvt_f64_f32_e32 v[3:4], v10
	v_lshrrev_b32_e32 v8, 16, v8
	v_and_or_b32 v7, v8, s11, v7
	v_and_b32_e32 v5, 0xffff, v5
	v_mul_f64 v[3:4], v[3:4], s[4:5]
	v_lshl_or_b32 v5, v7, 16, v5
	v_mov_b32_e32 v7, s2
	v_add_co_u32_e32 v1, vcc, s3, v1
	v_addc_co_u32_e32 v2, vcc, v2, v7, vcc
	global_store_dword v[1:2], v5, off
	v_and_or_b32 v3, v4, s6, v3
	v_cmp_ne_u32_e32 vcc, 0, v3
	v_cndmask_b32_e64 v3, 0, 1, vcc
	v_lshrrev_b32_e32 v5, 8, v4
	v_bfe_u32 v7, v4, 20, 11
	v_and_or_b32 v3, v5, s7, v3
	v_sub_u32_e32 v8, 0x3f1, v7
	v_or_b32_e32 v5, 0x1000, v3
	v_med3_i32 v8, v8, 0, 13
	v_lshrrev_b32_e32 v10, v8, v5
	v_lshlrev_b32_e32 v8, v8, v10
	v_mul_f16_sdwa v6, v31, v6 dst_sel:DWORD dst_unused:UNUSED_PAD src0_sel:WORD_1 src1_sel:DWORD
	v_cmp_ne_u32_e32 vcc, v8, v5
	v_fma_f16 v6, v31, v9, -v6
	v_cndmask_b32_e64 v5, 0, 1, vcc
	v_add_u32_e32 v7, 0xfffffc10, v7
	v_cvt_f32_f16_e32 v6, v6
	v_or_b32_e32 v5, v10, v5
	v_lshl_or_b32 v8, v7, 12, v3
	v_cmp_gt_i32_e32 vcc, 1, v7
	v_cndmask_b32_e32 v5, v8, v5, vcc
	v_and_b32_e32 v8, 7, v5
	v_cmp_lt_i32_e32 vcc, 5, v8
	v_cmp_eq_u32_e64 s[0:1], 3, v8
	v_lshrrev_b32_e32 v8, 2, v5
	v_cvt_f64_f32_e32 v[5:6], v6
	s_or_b64 vcc, s[0:1], vcc
	v_addc_co_u32_e32 v8, vcc, 0, v8, vcc
	v_mul_f64 v[5:6], v[5:6], s[4:5]
	v_cmp_gt_i32_e32 vcc, 31, v7
	v_cndmask_b32_e32 v8, v0, v8, vcc
	v_cmp_ne_u32_e32 vcc, 0, v3
	v_cndmask_b32_e64 v3, 0, 1, vcc
	v_lshl_or_b32 v3, v3, 9, v0
	v_cmp_eq_u32_e32 vcc, s10, v7
	v_cndmask_b32_e32 v3, v8, v3, vcc
	v_lshrrev_b32_e32 v4, 16, v4
	v_and_or_b32 v7, v4, s11, v3
	v_and_or_b32 v3, v6, s6, v5
	v_cmp_ne_u32_e32 vcc, 0, v3
	v_cndmask_b32_e64 v3, 0, 1, vcc
	v_lshrrev_b32_e32 v4, 8, v6
	v_bfe_u32 v5, v6, 20, 11
	v_and_or_b32 v3, v4, s7, v3
	v_sub_u32_e32 v8, 0x3f1, v5
	v_or_b32_e32 v4, 0x1000, v3
	v_med3_i32 v8, v8, 0, 13
	v_lshrrev_b32_e32 v9, v8, v4
	v_lshlrev_b32_e32 v8, v8, v9
	v_cmp_ne_u32_e32 vcc, v8, v4
	v_cndmask_b32_e64 v4, 0, 1, vcc
	v_add_u32_e32 v5, 0xfffffc10, v5
	v_or_b32_e32 v4, v9, v4
	v_lshl_or_b32 v8, v5, 12, v3
	v_cmp_gt_i32_e32 vcc, 1, v5
	v_cndmask_b32_e32 v4, v8, v4, vcc
	v_and_b32_e32 v8, 7, v4
	v_cmp_lt_i32_e32 vcc, 5, v8
	v_cmp_eq_u32_e64 s[0:1], 3, v8
	ds_read_b32 v8, v30 offset:1056
	v_lshrrev_b32_e32 v4, 2, v4
	s_or_b64 vcc, s[0:1], vcc
	v_addc_co_u32_e32 v4, vcc, 0, v4, vcc
	s_waitcnt lgkmcnt(0)
	v_lshrrev_b32_e32 v9, 16, v8
	v_mul_f16_sdwa v10, v29, v9 dst_sel:DWORD dst_unused:UNUSED_PAD src0_sel:WORD_1 src1_sel:DWORD
	v_fma_f16 v10, v29, v8, v10
	v_cmp_gt_i32_e32 vcc, 31, v5
	v_cvt_f32_f16_e32 v10, v10
	v_cndmask_b32_e32 v4, v0, v4, vcc
	v_cmp_ne_u32_e32 vcc, 0, v3
	v_cndmask_b32_e64 v3, 0, 1, vcc
	v_lshl_or_b32 v3, v3, 9, v0
	v_cmp_eq_u32_e32 vcc, s10, v5
	v_cndmask_b32_e32 v5, v4, v3, vcc
	v_cvt_f64_f32_e32 v[3:4], v10
	v_lshrrev_b32_e32 v6, 16, v6
	v_and_or_b32 v5, v6, s11, v5
	v_and_b32_e32 v6, 0xffff, v7
	v_mul_f64 v[3:4], v[3:4], s[4:5]
	v_lshl_or_b32 v5, v5, 16, v6
	v_mov_b32_e32 v6, s2
	v_add_co_u32_e32 v1, vcc, s3, v1
	v_addc_co_u32_e32 v2, vcc, v2, v6, vcc
	global_store_dword v[1:2], v5, off
	v_and_or_b32 v3, v4, s6, v3
	v_cmp_ne_u32_e32 vcc, 0, v3
	v_cndmask_b32_e64 v3, 0, 1, vcc
	v_lshrrev_b32_e32 v5, 8, v4
	v_bfe_u32 v6, v4, 20, 11
	v_and_or_b32 v3, v5, s7, v3
	v_sub_u32_e32 v7, 0x3f1, v6
	v_or_b32_e32 v5, 0x1000, v3
	v_med3_i32 v7, v7, 0, 13
	v_lshrrev_b32_e32 v10, v7, v5
	v_lshlrev_b32_e32 v7, v7, v10
	v_mul_f16_sdwa v8, v29, v8 dst_sel:DWORD dst_unused:UNUSED_PAD src0_sel:WORD_1 src1_sel:DWORD
	v_cmp_ne_u32_e32 vcc, v7, v5
	v_fma_f16 v8, v29, v9, -v8
	v_cndmask_b32_e64 v5, 0, 1, vcc
	v_add_u32_e32 v7, 0xfffffc10, v6
	v_cvt_f32_f16_e32 v8, v8
	v_or_b32_e32 v5, v10, v5
	v_lshl_or_b32 v6, v7, 12, v3
	v_cmp_gt_i32_e32 vcc, 1, v7
	v_cndmask_b32_e32 v5, v6, v5, vcc
	v_and_b32_e32 v6, 7, v5
	v_cmp_lt_i32_e32 vcc, 5, v6
	v_cmp_eq_u32_e64 s[0:1], 3, v6
	v_lshrrev_b32_e32 v9, 2, v5
	v_cvt_f64_f32_e32 v[5:6], v8
	s_or_b64 vcc, s[0:1], vcc
	v_addc_co_u32_e32 v8, vcc, 0, v9, vcc
	v_mul_f64 v[5:6], v[5:6], s[4:5]
	v_cmp_gt_i32_e32 vcc, 31, v7
	v_cndmask_b32_e32 v8, v0, v8, vcc
	v_cmp_ne_u32_e32 vcc, 0, v3
	v_cndmask_b32_e64 v3, 0, 1, vcc
	v_lshl_or_b32 v3, v3, 9, v0
	v_cmp_eq_u32_e32 vcc, s10, v7
	v_cndmask_b32_e32 v3, v8, v3, vcc
	v_lshrrev_b32_e32 v4, 16, v4
	v_and_or_b32 v3, v4, s11, v3
	v_and_or_b32 v4, v6, s6, v5
	v_cmp_ne_u32_e32 vcc, 0, v4
	v_cndmask_b32_e64 v4, 0, 1, vcc
	v_lshrrev_b32_e32 v5, 8, v6
	v_bfe_u32 v7, v6, 20, 11
	v_and_or_b32 v4, v5, s7, v4
	v_sub_u32_e32 v8, 0x3f1, v7
	v_or_b32_e32 v5, 0x1000, v4
	v_med3_i32 v8, v8, 0, 13
	v_lshrrev_b32_e32 v9, v8, v5
	v_lshlrev_b32_e32 v8, v8, v9
	v_cmp_ne_u32_e32 vcc, v8, v5
	v_cndmask_b32_e64 v5, 0, 1, vcc
	v_add_u32_e32 v7, 0xfffffc10, v7
	v_or_b32_e32 v5, v9, v5
	v_lshl_or_b32 v8, v7, 12, v4
	v_cmp_gt_i32_e32 vcc, 1, v7
	v_cndmask_b32_e32 v5, v8, v5, vcc
	v_and_b32_e32 v8, 7, v5
	v_cmp_lt_i32_e32 vcc, 5, v8
	v_cmp_eq_u32_e64 s[0:1], 3, v8
	v_lshrrev_b32_e32 v5, 2, v5
	s_or_b64 vcc, s[0:1], vcc
	v_addc_co_u32_e32 v5, vcc, 0, v5, vcc
	v_cmp_gt_i32_e32 vcc, 31, v7
	v_cndmask_b32_e32 v5, v0, v5, vcc
	v_cmp_ne_u32_e32 vcc, 0, v4
	v_cndmask_b32_e64 v4, 0, 1, vcc
	v_lshl_or_b32 v0, v4, 9, v0
	v_cmp_eq_u32_e32 vcc, s10, v7
	v_cndmask_b32_e32 v0, v5, v0, vcc
	v_lshrrev_b32_e32 v4, 16, v6
	v_and_or_b32 v0, v4, s11, v0
	v_and_b32_e32 v3, 0xffff, v3
	v_lshl_or_b32 v3, v0, 16, v3
	v_mov_b32_e32 v4, s2
	v_add_co_u32_e32 v0, vcc, s3, v1
	v_addc_co_u32_e32 v1, vcc, v2, v4, vcc
	global_store_dword v[0:1], v3, off
.LBB0_10:
	s_endpgm
	.section	.rodata,"a",@progbits
	.p2align	6, 0x0
	.amdhsa_kernel bluestein_single_back_len297_dim1_half_op_CI_CI
		.amdhsa_group_segment_fixed_size 8316
		.amdhsa_private_segment_fixed_size 0
		.amdhsa_kernarg_size 104
		.amdhsa_user_sgpr_count 6
		.amdhsa_user_sgpr_private_segment_buffer 1
		.amdhsa_user_sgpr_dispatch_ptr 0
		.amdhsa_user_sgpr_queue_ptr 0
		.amdhsa_user_sgpr_kernarg_segment_ptr 1
		.amdhsa_user_sgpr_dispatch_id 0
		.amdhsa_user_sgpr_flat_scratch_init 0
		.amdhsa_user_sgpr_private_segment_size 0
		.amdhsa_uses_dynamic_stack 0
		.amdhsa_system_sgpr_private_segment_wavefront_offset 0
		.amdhsa_system_sgpr_workgroup_id_x 1
		.amdhsa_system_sgpr_workgroup_id_y 0
		.amdhsa_system_sgpr_workgroup_id_z 0
		.amdhsa_system_sgpr_workgroup_info 0
		.amdhsa_system_vgpr_workitem_id 0
		.amdhsa_next_free_vgpr 148
		.amdhsa_next_free_sgpr 24
		.amdhsa_reserve_vcc 1
		.amdhsa_reserve_flat_scratch 0
		.amdhsa_float_round_mode_32 0
		.amdhsa_float_round_mode_16_64 0
		.amdhsa_float_denorm_mode_32 3
		.amdhsa_float_denorm_mode_16_64 3
		.amdhsa_dx10_clamp 1
		.amdhsa_ieee_mode 1
		.amdhsa_fp16_overflow 0
		.amdhsa_exception_fp_ieee_invalid_op 0
		.amdhsa_exception_fp_denorm_src 0
		.amdhsa_exception_fp_ieee_div_zero 0
		.amdhsa_exception_fp_ieee_overflow 0
		.amdhsa_exception_fp_ieee_underflow 0
		.amdhsa_exception_fp_ieee_inexact 0
		.amdhsa_exception_int_div_zero 0
	.end_amdhsa_kernel
	.text
.Lfunc_end0:
	.size	bluestein_single_back_len297_dim1_half_op_CI_CI, .Lfunc_end0-bluestein_single_back_len297_dim1_half_op_CI_CI
                                        ; -- End function
	.section	.AMDGPU.csdata,"",@progbits
; Kernel info:
; codeLenInByte = 14476
; NumSgprs: 28
; NumVgprs: 148
; ScratchSize: 0
; MemoryBound: 0
; FloatMode: 240
; IeeeMode: 1
; LDSByteSize: 8316 bytes/workgroup (compile time only)
; SGPRBlocks: 3
; VGPRBlocks: 36
; NumSGPRsForWavesPerEU: 28
; NumVGPRsForWavesPerEU: 148
; Occupancy: 1
; WaveLimiterHint : 1
; COMPUTE_PGM_RSRC2:SCRATCH_EN: 0
; COMPUTE_PGM_RSRC2:USER_SGPR: 6
; COMPUTE_PGM_RSRC2:TRAP_HANDLER: 0
; COMPUTE_PGM_RSRC2:TGID_X_EN: 1
; COMPUTE_PGM_RSRC2:TGID_Y_EN: 0
; COMPUTE_PGM_RSRC2:TGID_Z_EN: 0
; COMPUTE_PGM_RSRC2:TIDIG_COMP_CNT: 0
	.type	__hip_cuid_24d84079a4c4782c,@object ; @__hip_cuid_24d84079a4c4782c
	.section	.bss,"aw",@nobits
	.globl	__hip_cuid_24d84079a4c4782c
__hip_cuid_24d84079a4c4782c:
	.byte	0                               ; 0x0
	.size	__hip_cuid_24d84079a4c4782c, 1

	.ident	"AMD clang version 19.0.0git (https://github.com/RadeonOpenCompute/llvm-project roc-6.4.0 25133 c7fe45cf4b819c5991fe208aaa96edf142730f1d)"
	.section	".note.GNU-stack","",@progbits
	.addrsig
	.addrsig_sym __hip_cuid_24d84079a4c4782c
	.amdgpu_metadata
---
amdhsa.kernels:
  - .args:
      - .actual_access:  read_only
        .address_space:  global
        .offset:         0
        .size:           8
        .value_kind:     global_buffer
      - .actual_access:  read_only
        .address_space:  global
        .offset:         8
        .size:           8
        .value_kind:     global_buffer
      - .actual_access:  read_only
        .address_space:  global
        .offset:         16
        .size:           8
        .value_kind:     global_buffer
      - .actual_access:  read_only
        .address_space:  global
        .offset:         24
        .size:           8
        .value_kind:     global_buffer
      - .actual_access:  read_only
        .address_space:  global
        .offset:         32
        .size:           8
        .value_kind:     global_buffer
      - .offset:         40
        .size:           8
        .value_kind:     by_value
      - .address_space:  global
        .offset:         48
        .size:           8
        .value_kind:     global_buffer
      - .address_space:  global
        .offset:         56
        .size:           8
        .value_kind:     global_buffer
      - .address_space:  global
        .offset:         64
        .size:           8
        .value_kind:     global_buffer
      - .address_space:  global
        .offset:         72
        .size:           8
        .value_kind:     global_buffer
      - .offset:         80
        .size:           4
        .value_kind:     by_value
      - .address_space:  global
        .offset:         88
        .size:           8
        .value_kind:     global_buffer
      - .address_space:  global
        .offset:         96
        .size:           8
        .value_kind:     global_buffer
    .group_segment_fixed_size: 8316
    .kernarg_segment_align: 8
    .kernarg_segment_size: 104
    .language:       OpenCL C
    .language_version:
      - 2
      - 0
    .max_flat_workgroup_size: 231
    .name:           bluestein_single_back_len297_dim1_half_op_CI_CI
    .private_segment_fixed_size: 0
    .sgpr_count:     28
    .sgpr_spill_count: 0
    .symbol:         bluestein_single_back_len297_dim1_half_op_CI_CI.kd
    .uniform_work_group_size: 1
    .uses_dynamic_stack: false
    .vgpr_count:     148
    .vgpr_spill_count: 0
    .wavefront_size: 64
amdhsa.target:   amdgcn-amd-amdhsa--gfx906
amdhsa.version:
  - 1
  - 2
...

	.end_amdgpu_metadata
